;; amdgpu-corpus repo=vllm-project/vllm kind=triton arch=gfx90a opt=O3 lang=triton
	.amdgcn_target "amdgcn-amd-amdhsa--gfx90a"
	.amdhsa_code_object_version 5
	.text
	.globl	_w8a8_block_int8_matmul         ; -- Begin function _w8a8_block_int8_matmul
	.p2align	8
	.type	_w8a8_block_int8_matmul,@function
_w8a8_block_int8_matmul:                ; @_w8a8_block_int8_matmul
.Lfunc_begin0:
	.cfi_sections .debug_frame
	.cfi_startproc
; %bb.262:
	.file	1 "/root/src/amdgpu-assembly/repos/vllm-project__vllm/triton_aot_kernels" "int8_utils_aot.py"
	.loc	1 33 0 prologue_end             ; int8_utils_aot.py:33:0
	s_load_dwordx2 s[6:7], s[4:5], 0x0
	s_load_dwordx8 s[8:15], s[4:5], 0x8
	s_waitcnt lgkmcnt(0)
	s_branch .LBB0_0
	.loc	1 0 0 is_stmt 0                 ; :0:0
.Ltmp0:
	.p2align	8
; %bb.263:
.LBB0_0:
	s_load_dwordx2 s[52:53], s[4:5], 0x28
	s_load_dword s33, s[4:5], 0x30
.Ltmp1:
	.loc	1 73 22 is_stmt 1               ; int8_utils_aot.py:73:22
	s_abs_i32 s18, s16
	.loc	1 80 51                         ; int8_utils_aot.py:80:51
	v_lshrrev_b32_e32 v2, 1, v0
	v_and_b32_e32 v11, 0x60, v2
.Ltmp2:
	.file	2 "/root/.local/lib/python3.13/site-packages/triton/language" "standard.py"
	.loc	2 43 17                         ; standard.py:43:17 @[ int8_utils_aot.py:71:27 ]
	s_waitcnt lgkmcnt(0)
	s_add_i32 s1, s53, 0x7f
	.loc	2 43 30 is_stmt 0               ; standard.py:43:30 @[ int8_utils_aot.py:71:27 ]
	s_ashr_i32 s2, s1, 31
	s_lshr_b32 s2, s2, 25
	s_add_i32 s1, s1, s2
	s_ashr_i32 s1, s1, 7
.Ltmp3:
	.loc	1 72 38 is_stmt 1               ; int8_utils_aot.py:72:38
	s_lshl_b32 s2, s1, 3
	.loc	1 73 22                         ; int8_utils_aot.py:73:22
	s_abs_i32 s3, s2
	v_cvt_f32_u32_e32 v1, s3
	s_sub_i32 s19, 0, s3
.Ltmp4:
	.loc	2 43 17                         ; standard.py:43:17 @[ int8_utils_aot.py:70:27 ]
	s_add_i32 s0, s52, 63
	.loc	2 43 30 is_stmt 0               ; standard.py:43:30 @[ int8_utils_aot.py:70:27 ]
	s_ashr_i32 s17, s0, 31
.Ltmp5:
	.loc	1 73 22 is_stmt 1               ; int8_utils_aot.py:73:22
	v_rcp_iflag_f32_e32 v1, v1
.Ltmp6:
	.loc	2 43 30                         ; standard.py:43:30 @[ int8_utils_aot.py:70:27 ]
	s_lshr_b32 s17, s17, 26
	s_add_i32 s0, s0, s17
.Ltmp7:
	.loc	1 73 22                         ; int8_utils_aot.py:73:22
	s_ashr_i32 s17, s16, 31
	v_mul_f32_e32 v1, 0x4f7ffffe, v1
	v_cvt_u32_f32_e32 v1, v1
	s_bfe_i32 s1, s1, 0x1001c
.Ltmp8:
	.loc	2 43 30                         ; standard.py:43:30 @[ int8_utils_aot.py:70:27 ]
	s_ashr_i32 s0, s0, 6
.Ltmp9:
	.loc	1 73 22                         ; int8_utils_aot.py:73:22
	s_xor_b32 s1, s17, s1
	v_readfirstlane_b32 s20, v1
	s_mul_i32 s19, s19, s20
	s_mul_hi_u32 s19, s20, s19
	s_add_i32 s20, s20, s19
	s_mul_hi_u32 s19, s18, s20
	s_mul_i32 s20, s19, s3
	s_sub_i32 s20, s18, s20
	s_add_i32 s21, s19, 1
	s_sub_i32 s22, s20, s3
	s_cmp_ge_u32 s20, s3
	s_cselect_b32 s19, s21, s19
	s_cselect_b32 s20, s22, s20
	s_add_i32 s21, s19, 1
	s_cmp_ge_u32 s20, s3
	s_cselect_b32 s3, s21, s19
	s_xor_b32 s3, s3, s1
	s_sub_i32 s1, s3, s1
	.loc	1 74 29                         ; int8_utils_aot.py:74:29
	s_lshl_b32 s62, s1, 3
	.loc	1 75 35                         ; int8_utils_aot.py:75:35
	s_sub_i32 s0, s0, s62
	.loc	1 75 48 is_stmt 0               ; int8_utils_aot.py:75:48
	s_min_i32 s0, s0, 8
	.loc	1 76 33 is_stmt 1               ; int8_utils_aot.py:76:33
	s_abs_i32 s3, s0
	v_cvt_f32_u32_e32 v1, s3
	s_sub_i32 s19, 0, s3
	.loc	1 77 19                         ; int8_utils_aot.py:77:19
	s_mul_i32 s1, s1, s2
	.loc	1 80 51                         ; int8_utils_aot.py:80:51
	v_and_b32_e32 v12, 32, v0
	.loc	1 76 33                         ; int8_utils_aot.py:76:33
	v_rcp_iflag_f32_e32 v1, v1
	.loc	1 80 51                         ; int8_utils_aot.py:80:51
	v_lshrrev_b32_e32 v10, 3, v12
	s_mov_b32 s56, 0
	.loc	1 76 33                         ; int8_utils_aot.py:76:33
	v_mul_f32_e32 v1, 0x4f7ffffe, v1
	v_cvt_u32_f32_e32 v1, v1
	v_readfirstlane_b32 s20, v1
	s_mul_i32 s19, s19, s20
	s_mul_hi_u32 s19, s20, s19
	s_add_i32 s20, s20, s19
	s_mul_hi_u32 s19, s18, s20
	s_mul_i32 s19, s19, s3
	s_sub_i32 s18, s18, s19
	s_sub_i32 s19, s18, s3
	s_cmp_ge_u32 s18, s3
	s_cselect_b32 s18, s19, s18
	s_sub_i32 s19, s18, s3
	s_cmp_ge_u32 s18, s3
	s_cselect_b32 s18, s19, s18
	.loc	1 77 19                         ; int8_utils_aot.py:77:19
	s_sub_i32 s1, s16, s1
	.loc	1 77 40 is_stmt 0               ; int8_utils_aot.py:77:40
	s_xor_b32 s0, s1, s0
	s_abs_i32 s1, s1
	s_mul_hi_u32 s2, s1, s20
	.loc	1 76 33 is_stmt 1               ; int8_utils_aot.py:76:33
	s_xor_b32 s18, s18, s17
	.loc	1 77 40                         ; int8_utils_aot.py:77:40
	s_mul_i32 s16, s2, s3
	.loc	1 76 33                         ; int8_utils_aot.py:76:33
	s_sub_i32 s17, s18, s17
	.loc	1 77 40                         ; int8_utils_aot.py:77:40
	s_sub_i32 s1, s1, s16
	.loc	1 76 27                         ; int8_utils_aot.py:76:27
	s_add_i32 s62, s62, s17
	.loc	1 77 40                         ; int8_utils_aot.py:77:40
	s_ashr_i32 s0, s0, 31
	s_add_i32 s16, s2, 1
	s_sub_i32 s17, s1, s3
	s_cmp_ge_u32 s1, s3
	s_cselect_b32 s2, s16, s2
	s_cselect_b32 s1, s17, s1
	s_add_i32 s16, s2, 1
	s_cmp_ge_u32 s1, s3
	s_cselect_b32 s1, s16, s2
	.loc	1 80 68                         ; int8_utils_aot.py:80:68
	s_abs_i32 s61, s53
	v_cvt_f32_u32_e32 v2, s61
	.loc	1 77 40                         ; int8_utils_aot.py:77:40
	s_xor_b32 s1, s1, s0
	s_sub_i32 s0, s1, s0
	.loc	1 80 23                         ; int8_utils_aot.py:80:23
	s_lshl_b32 s63, s0, 7
	.loc	1 80 68 is_stmt 0               ; int8_utils_aot.py:80:68
	v_rcp_iflag_f32_e32 v2, v2
	s_bfe_i32 s57, s0, 0x10018
	s_sub_i32 s0, 0, s61
	.loc	1 80 38                         ; int8_utils_aot.py:80:38
	v_or3_b32 v51, v10, v11, s63
	.loc	1 80 68                         ; int8_utils_aot.py:80:68
	v_mul_f32_e32 v2, 0x4f7ffffe, v2
	v_cvt_u32_f32_e32 v2, v2
	v_add_u32_e32 v3, s57, v51
	v_xor_b32_e32 v3, s57, v3
	.loc	1 80 38                         ; int8_utils_aot.py:80:38
	v_or_b32_e32 v49, 1, v51
	.loc	1 80 68                         ; int8_utils_aot.py:80:68
	v_mul_lo_u32 v4, s0, v2
	v_mul_hi_u32 v4, v2, v4
	v_add_u32_e32 v2, v2, v4
	v_mul_hi_u32 v4, v3, v2
	v_mul_lo_u32 v4, v4, s61
	v_sub_u32_e32 v3, v3, v4
	v_subrev_u32_e32 v4, s61, v3
	v_cmp_le_u32_e32 vcc, s61, v3
	v_cndmask_b32_e32 v3, v3, v4, vcc
	v_add_u32_e32 v4, s57, v49
	v_xor_b32_e32 v4, s57, v4
	v_mul_hi_u32 v5, v4, v2
	v_mul_lo_u32 v5, v5, s61
	v_sub_u32_e32 v4, v4, v5
	.loc	1 80 38                         ; int8_utils_aot.py:80:38
	v_or_b32_e32 v48, 2, v51
	.loc	1 80 68                         ; int8_utils_aot.py:80:68
	v_subrev_u32_e32 v5, s61, v4
	v_cmp_le_u32_e64 s[0:1], s61, v4
	v_cndmask_b32_e64 v4, v4, v5, s[0:1]
	v_add_u32_e32 v5, s57, v48
	v_xor_b32_e32 v5, s57, v5
	v_mul_hi_u32 v6, v5, v2
	v_mul_lo_u32 v6, v6, s61
	v_sub_u32_e32 v5, v5, v6
	.loc	1 80 38                         ; int8_utils_aot.py:80:38
	v_or_b32_e32 v47, 3, v51
	.loc	1 80 68                         ; int8_utils_aot.py:80:68
	v_subrev_u32_e32 v6, s61, v5
	v_cmp_le_u32_e64 s[2:3], s61, v5
	v_cndmask_b32_e64 v5, v5, v6, s[2:3]
	;; [unrolled: 11-line block ×14, first 2 shown]
	v_add_u32_e32 v13, s57, v38
	v_xor_b32_e32 v13, s57, v13
	v_mul_hi_u32 v22, v13, v2
	v_mul_lo_u32 v22, v22, s61
	v_sub_u32_e32 v13, v13, v22
	.loc	1 79 23 is_stmt 1               ; int8_utils_aot.py:79:23
	s_lshl_b32 s58, s62, 6
	.loc	1 79 51 is_stmt 0               ; int8_utils_aot.py:79:51
	v_and_b32_e32 v1, 31, v0
	.loc	1 80 68 is_stmt 1               ; int8_utils_aot.py:80:68
	v_subrev_u32_e32 v22, s61, v13
	v_cmp_le_u32_e64 s[42:43], s61, v13
	.loc	1 79 38                         ; int8_utils_aot.py:79:38
	v_or_b32_e32 v50, s58, v1
	.loc	1 80 68                         ; int8_utils_aot.py:80:68
	v_cndmask_b32_e64 v22, v13, v22, s[42:43]
.Ltmp10:
	.loc	2 43 17                         ; standard.py:43:17 @[ int8_utils_aot.py:90:33 ]
	s_add_i32 s59, s33, 0x7f
.Ltmp11:
	.loc	1 79 38                         ; int8_utils_aot.py:79:38
	v_or_b32_e32 v39, 32, v50
	.loc	1 80 68                         ; int8_utils_aot.py:80:68
	v_cmp_le_u32_e32 vcc, s61, v3
	v_cmp_le_u32_e64 s[0:1], s61, v4
	v_cmp_le_u32_e64 s[2:3], s61, v5
	;; [unrolled: 1-line block ×14, first 2 shown]
	.loc	1 90 22                         ; int8_utils_aot.py:90:22
	s_cmpk_lt_i32 s59, 0x80
	.loc	1 80 68                         ; int8_utils_aot.py:80:68
	v_cmp_le_u32_e64 s[42:43], s61, v22
	.loc	1 90 22                         ; int8_utils_aot.py:90:22
	s_cbranch_scc1 .LBB0_195
; %bb.1:                                ; %.lr.ph
	.loc	1 0 0 is_stmt 0                 ; int8_utils_aot.py:0
	s_abs_i32 s60, s52
	v_cvt_f32_u32_e32 v13, s60
	s_bfe_i32 s62, s62, 0x10019
	v_accvgpr_write_b32 a39, v23
	v_add_u32_e32 v23, s62, v50
	v_rcp_iflag_f32_e32 v13, v13
	s_sub_i32 s64, 0, s60
	v_xor_b32_e32 v28, s62, v23
	v_accvgpr_write_b32 a38, v26
	v_mul_f32_e32 v13, 0x4f7ffffe, v13
	v_cvt_u32_f32_e32 v13, v13
	v_accvgpr_write_b32 a37, v25
	v_add_u32_e32 v26, s62, v39
	v_accvgpr_write_b32 a40, v27
	v_mul_lo_u32 v23, s64, v13
	v_mul_hi_u32 v23, v13, v23
	v_add_u32_e32 v13, v13, v23
	v_mad_u64_u32 v[24:25], s[64:65], v28, v13, 0
	v_xor_b32_e32 v24, s62, v26
	v_mad_u64_u32 v[26:27], s[64:65], v24, v13, 0
	v_subrev_u32_e32 v26, s61, v3
	v_cndmask_b32_e32 v3, v3, v26, vcc
	v_subrev_u32_e32 v26, s61, v4
	v_cndmask_b32_e64 v4, v4, v26, s[0:1]
	v_subrev_u32_e32 v26, s61, v5
	v_cndmask_b32_e64 v5, v5, v26, s[2:3]
	;; [unrolled: 2-line block ×5, first 2 shown]
	v_xor_b32_e32 v8, s57, v8
	v_subrev_u32_e32 v26, s57, v8
	v_subrev_u32_e32 v8, s61, v9
	v_cndmask_b32_e64 v8, v9, v8, s[22:23]
	v_xor_b32_e32 v8, s57, v8
	v_accvgpr_write_b32 a35, v29
	v_subrev_u32_e32 v29, s57, v8
	v_subrev_u32_e32 v8, s61, v14
	v_cndmask_b32_e64 v8, v14, v8, s[24:25]
	v_xor_b32_e32 v8, s57, v8
	v_accvgpr_write_b32 a36, v30
	;; [unrolled: 5-line block ×3, first 2 shown]
	v_subrev_u32_e32 v31, s57, v8
	v_subrev_u32_e32 v8, s61, v16
	v_cndmask_b32_e64 v8, v16, v8, s[28:29]
	v_xor_b32_e32 v8, s57, v8
	v_subrev_u32_e32 v32, s57, v8
	v_subrev_u32_e32 v8, s61, v17
	v_cndmask_b32_e64 v8, v17, v8, s[30:31]
	v_xor_b32_e32 v8, s57, v8
	;; [unrolled: 4-line block ×4, first 2 shown]
	v_subrev_u32_e32 v35, s57, v8
	v_subrev_u32_e32 v8, s61, v20
	s_load_dwordx4 s[48:51], s[4:5], 0x34
	s_load_dwordx2 s[54:55], s[4:5], 0x44
	v_cndmask_b32_e64 v8, v20, v8, s[38:39]
	v_xor_b32_e32 v8, s57, v8
	v_subrev_u32_e32 v36, s57, v8
	v_subrev_u32_e32 v8, s61, v21
	v_cndmask_b32_e64 v8, v21, v8, s[40:41]
	v_xor_b32_e32 v8, s57, v8
	s_waitcnt lgkmcnt(0)
	s_abs_i32 s2, s48
	v_subrev_u32_e32 v37, s57, v8
	v_subrev_u32_e32 v8, s61, v22
	v_cvt_f32_u32_e32 v9, s2
	v_and_b32_e32 v69, 0x7f, v0
	v_cndmask_b32_e64 v8, v22, v8, s[42:43]
	v_or_b32_e32 v23, s63, v69
	v_xor_b32_e32 v8, s57, v8
	v_accvgpr_write_b32 a33, v38
	v_subrev_u32_e32 v38, s57, v8
	v_add_u32_e32 v8, s57, v23
	v_accvgpr_write_b32 a32, v39
	v_xor_b32_e32 v39, s57, v8
	v_rcp_iflag_f32_e32 v8, v9
	v_mad_u64_u32 v[14:15], s[0:1], v39, v2, 0
	v_xor_b32_e32 v3, s57, v3
	v_mul_f32_e32 v2, 0x4f7ffffe, v8
	v_cvt_u32_f32_e32 v2, v2
	v_subrev_u32_e32 v3, s57, v3
	v_sub_u32_e32 v8, 0, v3
	s_sub_i32 s0, 0, s2
	v_accvgpr_write_b32 a42, v41
	v_accvgpr_write_b32 a34, v40
	v_ashrrev_i32_e32 v40, 31, v3
	v_max_i32_e32 v41, v8, v3
	v_mul_lo_u32 v3, s0, v2
	v_xor_b32_e32 v4, s57, v4
	v_mul_hi_u32 v3, v2, v3
	v_subrev_u32_e32 v4, s57, v4
	v_add_u32_e32 v42, v2, v3
	v_xor_b32_e32 v5, s57, v5
	v_mad_u64_u32 v[16:17], s[0:1], v41, v42, 0
	v_sub_u32_e32 v2, 0, v4
	v_subrev_u32_e32 v5, s57, v5
	v_xor_b32_e32 v6, s57, v6
	v_max_i32_e32 v16, v2, v4
	v_subrev_u32_e32 v6, s57, v6
	v_xor_b32_e32 v7, s57, v7
	v_mad_u64_u32 v[18:19], s[0:1], v16, v42, 0
	v_sub_u32_e32 v2, 0, v5
	v_subrev_u32_e32 v7, s57, v7
	v_max_i32_e32 v18, v2, v5
	v_sub_u32_e32 v2, 0, v6
	v_accvgpr_write_b32 a44, v45
	v_max_i32_e32 v45, v2, v6
	v_sub_u32_e32 v2, 0, v7
	v_max_i32_e32 v46, v2, v7
	v_sub_u32_e32 v2, 0, v26
	v_accvgpr_write_b32 a45, v47
	v_ashrrev_i32_e32 v47, 31, v26
	v_max_i32_e32 v26, v2, v26
	v_sub_u32_e32 v2, 0, v29
	v_accvgpr_write_b32 a46, v48
	v_ashrrev_i32_e32 v48, 31, v29
	;; [unrolled: 4-line block ×3, first 2 shown]
	v_max_i32_e32 v30, v2, v30
	v_mad_u64_u32 v[2:3], s[0:1], v30, v42, 0
	v_sub_u32_e32 v2, 0, v31
	v_accvgpr_write_b32 a48, v50
	v_max_i32_e32 v50, v2, v31
	.loc	1 79 68 is_stmt 1               ; int8_utils_aot.py:79:68
	v_mul_lo_u32 v2, v25, s60
	v_accvgpr_write_b32 a43, v44
	.loc	1 0 0 is_stmt 0                 ; int8_utils_aot.py:0
	v_ashrrev_i32_e32 v43, 31, v4
	v_ashrrev_i32_e32 v44, 31, v5
	v_mad_u64_u32 v[4:5], s[0:1], v29, v42, 0
	.loc	1 79 68                         ; int8_utils_aot.py:79:68
	v_sub_u32_e32 v2, v28, v2
	v_subrev_u32_e32 v4, s60, v2
	v_cmp_le_u32_e32 vcc, s60, v2
	v_cndmask_b32_e32 v2, v2, v4, vcc
	v_subrev_u32_e32 v4, s60, v2
	v_cmp_le_u32_e32 vcc, s60, v2
	v_cndmask_b32_e32 v2, v2, v4, vcc
	v_xor_b32_e32 v2, s62, v2
	.loc	1 0 0                           ; int8_utils_aot.py:0
	v_mad_u64_u32 v[20:21], s[0:1], v18, v42, 0
	v_mad_u64_u32 v[22:23], s[0:1], v45, v42, 0
	.loc	1 79 68                         ; int8_utils_aot.py:79:68
	v_subrev_u32_e32 v4, s62, v2
	v_mul_lo_u32 v2, v27, s60
	.loc	1 0 0                           ; int8_utils_aot.py:0
	v_ashrrev_i32_e32 v20, 31, v6
	v_ashrrev_i32_e32 v22, 31, v7
	v_mad_u64_u32 v[6:7], s[0:1], v26, v42, 0
	.loc	1 79 68                         ; int8_utils_aot.py:79:68
	v_sub_u32_e32 v2, v24, v2
	v_subrev_u32_e32 v6, s60, v2
	v_cmp_le_u32_e32 vcc, s60, v2
	v_cndmask_b32_e32 v2, v2, v6, vcc
	s_load_dwordx4 s[44:47], s[4:5], 0x54
	v_subrev_u32_e32 v6, s60, v2
	v_cmp_le_u32_e32 vcc, s60, v2
	v_cndmask_b32_e32 v2, v2, v6, vcc
	v_xor_b32_e32 v2, s62, v2
	v_subrev_u32_e32 v6, s62, v2
	.loc	1 80 68 is_stmt 1               ; int8_utils_aot.py:80:68
	v_mul_lo_u32 v2, v15, s61
	.loc	1 0 0 is_stmt 0                 ; int8_utils_aot.py:0
	v_mad_u64_u32 v[8:9], s[0:1], v46, v42, 0
	.loc	1 80 68                         ; int8_utils_aot.py:80:68
	v_sub_u32_e32 v2, v39, v2
	v_subrev_u32_e32 v8, s61, v2
	v_cmp_le_u32_e32 vcc, s61, v2
	.loc	1 85 29 is_stmt 1               ; int8_utils_aot.py:85:29
	s_waitcnt lgkmcnt(0)
	v_mul_lo_u32 v14, v4, s44
	.loc	1 80 68                         ; int8_utils_aot.py:80:68
	v_cndmask_b32_e32 v2, v2, v8, vcc
	.loc	1 85 19                         ; int8_utils_aot.py:85:19
	v_ashrrev_i32_e32 v15, 31, v14
	.loc	1 80 68                         ; int8_utils_aot.py:80:68
	v_subrev_u32_e32 v8, s61, v2
	v_cmp_le_u32_e32 vcc, s61, v2
	.loc	1 85 19                         ; int8_utils_aot.py:85:19
	v_lshlrev_b64 v[14:15], 2, v[14:15]
	.loc	1 80 68                         ; int8_utils_aot.py:80:68
	v_cndmask_b32_e32 v2, v2, v8, vcc
	.loc	1 85 29                         ; int8_utils_aot.py:85:29
	v_mul_lo_u32 v24, v6, s44
	.loc	1 85 19 is_stmt 0               ; int8_utils_aot.py:85:19
	v_mov_b32_e32 v4, s13
	v_add_co_u32_e32 v6, vcc, s12, v14
	v_addc_co_u32_e32 v15, vcc, v4, v15, vcc
	v_ashrrev_i32_e32 v25, 31, v24
	v_accvgpr_write_b32 a51, v15
	v_lshlrev_b64 v[14:15], 2, v[24:25]
	v_accvgpr_write_b32 a50, v6
	.loc	1 86 26 is_stmt 1               ; int8_utils_aot.py:86:26
	v_mul_lo_u32 v6, v17, s2
	.loc	1 85 19                         ; int8_utils_aot.py:85:19
	v_add_co_u32_e64 v14, s[0:1], s12, v14
	.loc	1 86 26                         ; int8_utils_aot.py:86:26
	v_sub_u32_e32 v6, v41, v6
	v_accvgpr_write_b32 a52, v14
	v_mul_lo_u32 v14, v19, s2
	v_add_u32_e32 v8, 1, v17
	v_cmp_le_u32_e32 vcc, s2, v6
	.loc	1 85 19                         ; int8_utils_aot.py:85:19
	v_addc_co_u32_e64 v15, s[0:1], v4, v15, s[0:1]
	.loc	1 86 26                         ; int8_utils_aot.py:86:26
	v_subrev_u32_e32 v4, s2, v6
	v_sub_u32_e32 v16, v16, v14
	v_cndmask_b32_e32 v8, v17, v8, vcc
	v_cndmask_b32_e32 v4, v6, v4, vcc
	v_add_u32_e32 v14, 1, v19
	v_cmp_le_u32_e32 vcc, s2, v16
	v_accvgpr_write_b32 a53, v15
	v_cndmask_b32_e32 v19, v19, v14, vcc
	.loc	1 0 0 is_stmt 0                 ; int8_utils_aot.py:0
	v_mad_u64_u32 v[14:15], s[0:1], v50, v42, 0
	.loc	1 86 26                         ; int8_utils_aot.py:86:26
	v_add_u32_e32 v6, 1, v8
	v_cmp_le_u32_e64 s[0:1], s2, v4
	.loc	1 0 0                           ; int8_utils_aot.py:0
	s_ashr_i32 s3, s48, 31
	.loc	1 86 26                         ; int8_utils_aot.py:86:26
	v_cndmask_b32_e64 v4, v8, v6, s[0:1]
	.loc	1 0 0                           ; int8_utils_aot.py:0
	v_sub_u32_e32 v6, 0, v32
	v_max_i32_e32 v14, v6, v32
	.loc	1 86 26                         ; int8_utils_aot.py:86:26
	v_xor_b32_e32 v6, s3, v40
	v_xor_b32_e32 v4, v4, v6
	v_mul_lo_u32 v8, v21, s2
	v_sub_u32_e32 v25, v4, v6
	v_subrev_u32_e32 v4, s2, v16
	v_sub_u32_e32 v8, v18, v8
	v_cndmask_b32_e32 v4, v16, v4, vcc
	v_add_u32_e32 v16, 1, v21
	v_cmp_le_u32_e32 vcc, s2, v8
	v_cndmask_b32_e32 v21, v21, v16, vcc
	.loc	1 0 0                           ; int8_utils_aot.py:0
	v_mad_u64_u32 v[16:17], s[0:1], v14, v42, 0
	.loc	1 86 26                         ; int8_utils_aot.py:86:26
	v_add_u32_e32 v6, 1, v19
	v_cmp_le_u32_e64 s[0:1], s2, v4
	v_cndmask_b32_e64 v4, v19, v6, s[0:1]
	.loc	1 0 0                           ; int8_utils_aot.py:0
	v_sub_u32_e32 v6, 0, v33
	v_max_i32_e32 v16, v6, v33
	.loc	1 86 26                         ; int8_utils_aot.py:86:26
	v_xor_b32_e32 v6, s3, v43
	v_xor_b32_e32 v4, v4, v6
	v_sub_u32_e32 v28, v4, v6
	v_subrev_u32_e32 v4, s2, v8
	v_cndmask_b32_e32 v4, v8, v4, vcc
	v_mul_lo_u32 v8, v23, s2
	v_sub_u32_e32 v8, v45, v8
	v_add_u32_e32 v18, 1, v23
	v_cmp_le_u32_e32 vcc, s2, v8
	v_cndmask_b32_e32 v23, v23, v18, vcc
	.loc	1 0 0                           ; int8_utils_aot.py:0
	v_mad_u64_u32 v[18:19], s[0:1], v16, v42, 0
	.loc	1 86 26                         ; int8_utils_aot.py:86:26
	v_add_u32_e32 v6, 1, v21
	v_cmp_le_u32_e64 s[0:1], s2, v4
	v_cndmask_b32_e64 v4, v21, v6, s[0:1]
	.loc	1 0 0                           ; int8_utils_aot.py:0
	v_sub_u32_e32 v6, 0, v34
	v_max_i32_e32 v18, v6, v34
	.loc	1 86 26                         ; int8_utils_aot.py:86:26
	v_xor_b32_e32 v6, s3, v44
	v_xor_b32_e32 v4, v4, v6
	.loc	1 0 0                           ; int8_utils_aot.py:0
	v_ashrrev_i32_e32 v27, 31, v33
	.loc	1 86 26                         ; int8_utils_aot.py:86:26
	v_sub_u32_e32 v33, v4, v6
	v_subrev_u32_e32 v4, s2, v8
	v_cndmask_b32_e32 v4, v8, v4, vcc
	v_mul_lo_u32 v8, v9, s2
	v_sub_u32_e32 v21, v46, v8
	v_add_u32_e32 v8, 1, v9
	v_cmp_le_u32_e32 vcc, s2, v21
	.loc	1 0 0                           ; int8_utils_aot.py:0
	v_ashrrev_i32_e32 v24, 31, v32
	v_ashrrev_i32_e32 v32, 31, v34
	.loc	1 86 26                         ; int8_utils_aot.py:86:26
	v_cndmask_b32_e32 v34, v9, v8, vcc
	.loc	1 0 0                           ; int8_utils_aot.py:0
	v_mad_u64_u32 v[8:9], s[0:1], v18, v42, 0
	.loc	1 86 26                         ; int8_utils_aot.py:86:26
	v_add_u32_e32 v6, 1, v23
	v_cmp_le_u32_e64 s[0:1], s2, v4
	v_cndmask_b32_e64 v4, v23, v6, s[0:1]
	.loc	1 0 0                           ; int8_utils_aot.py:0
	v_sub_u32_e32 v6, 0, v35
	v_max_i32_e32 v8, v6, v35
	.loc	1 86 26                         ; int8_utils_aot.py:86:26
	v_xor_b32_e32 v6, s3, v20
	v_xor_b32_e32 v4, v4, v6
	v_sub_u32_e32 v39, v4, v6
	v_subrev_u32_e32 v4, s2, v21
	v_mul_lo_u32 v6, v7, s2
	v_cndmask_b32_e32 v4, v21, v4, vcc
	v_sub_u32_e32 v21, v26, v6
	v_add_u32_e32 v6, 1, v7
	v_cmp_le_u32_e32 vcc, s2, v21
	v_cndmask_b32_e32 v23, v7, v6, vcc
	.loc	1 0 0                           ; int8_utils_aot.py:0
	v_mad_u64_u32 v[6:7], s[0:1], v8, v42, 0
	.loc	1 86 26                         ; int8_utils_aot.py:86:26
	v_add_u32_e32 v20, 1, v34
	v_cmp_le_u32_e64 s[0:1], s2, v4
	v_cndmask_b32_e64 v4, v34, v20, s[0:1]
	v_xor_b32_e32 v20, s3, v22
	v_xor_b32_e32 v4, v4, v20
	v_sub_u32_e32 v34, v4, v20
	v_subrev_u32_e32 v4, s2, v21
	v_cndmask_b32_e32 v20, v21, v4, vcc
	v_mul_lo_u32 v4, v5, s2
	.loc	1 0 0                           ; int8_utils_aot.py:0
	v_sub_u32_e32 v6, 0, v36
	.loc	1 86 26                         ; int8_utils_aot.py:86:26
	v_sub_u32_e32 v22, v29, v4
	.loc	1 0 0                           ; int8_utils_aot.py:0
	v_max_i32_e32 v6, v6, v36
	.loc	1 86 26                         ; int8_utils_aot.py:86:26
	v_add_u32_e32 v4, 1, v5
	v_cmp_le_u32_e32 vcc, s2, v22
	v_cndmask_b32_e32 v29, v5, v4, vcc
	.loc	1 0 0                           ; int8_utils_aot.py:0
	v_mad_u64_u32 v[4:5], s[0:1], v6, v42, 0
	.loc	1 86 26                         ; int8_utils_aot.py:86:26
	v_add_u32_e32 v21, 1, v23
	v_cmp_le_u32_e64 s[0:1], s2, v20
	.loc	1 0 0                           ; int8_utils_aot.py:0
	v_sub_u32_e32 v20, 0, v37
	v_ashrrev_i32_e32 v26, 31, v36
	.loc	1 86 26                         ; int8_utils_aot.py:86:26
	v_cndmask_b32_e64 v4, v23, v21, s[0:1]
	.loc	1 0 0                           ; int8_utils_aot.py:0
	v_max_i32_e32 v36, v20, v37
	.loc	1 86 26                         ; int8_utils_aot.py:86:26
	v_xor_b32_e32 v20, s3, v47
	v_xor_b32_e32 v4, v4, v20
	v_sub_u32_e32 v40, v4, v20
	v_mul_lo_u32 v20, v3, s2
	v_subrev_u32_e32 v4, s2, v22
	v_sub_u32_e32 v23, v30, v20
	v_cndmask_b32_e32 v4, v22, v4, vcc
	v_add_u32_e32 v20, 1, v3
	v_cmp_le_u32_e32 vcc, s2, v23
	v_cndmask_b32_e32 v3, v3, v20, vcc
	.loc	1 0 0                           ; int8_utils_aot.py:0
	v_mad_u64_u32 v[20:21], s[0:1], v36, v42, 0
	.loc	1 86 26                         ; int8_utils_aot.py:86:26
	v_add_u32_e32 v22, 1, v29
	v_cmp_le_u32_e64 s[0:1], s2, v4
	v_cndmask_b32_e64 v4, v29, v22, s[0:1]
	v_xor_b32_e32 v22, s3, v48
	v_xor_b32_e32 v4, v4, v22
	.loc	1 0 0                           ; int8_utils_aot.py:0
	v_sub_u32_e32 v20, 0, v38
	.loc	1 86 26                         ; int8_utils_aot.py:86:26
	v_sub_u32_e32 v30, v4, v22
	v_subrev_u32_e32 v4, s2, v23
	.loc	1 0 0                           ; int8_utils_aot.py:0
	v_max_i32_e32 v20, v20, v38
	.loc	1 86 26                         ; int8_utils_aot.py:86:26
	v_cndmask_b32_e32 v4, v23, v4, vcc
	.loc	1 0 0                           ; int8_utils_aot.py:0
	v_ashrrev_i32_e32 v29, 31, v38
	.loc	1 86 26                         ; int8_utils_aot.py:86:26
	v_add_u32_e32 v38, 1, v3
	.loc	1 0 0                           ; int8_utils_aot.py:0
	v_mad_u64_u32 v[22:23], s[0:1], v20, v42, 0
	.loc	1 86 26                         ; int8_utils_aot.py:86:26
	v_cmp_le_u32_e32 vcc, s2, v4
	v_xor_b32_e32 v22, s3, v49
	v_cndmask_b32_e32 v3, v3, v38, vcc
	v_xor_b32_e32 v3, v3, v22
	v_sub_u32_e32 v3, v3, v22
	v_mul_lo_u32 v22, v15, s2
	.loc	1 0 0                           ; int8_utils_aot.py:0
	v_ashrrev_i32_e32 v31, 31, v31
	.loc	1 86 26                         ; int8_utils_aot.py:86:26
	v_sub_u32_e32 v22, v50, v22
	v_xor_b32_e32 v4, s3, v31
	v_add_u32_e32 v31, 1, v15
	v_cmp_le_u32_e32 vcc, s2, v22
	v_cndmask_b32_e32 v15, v15, v31, vcc
	v_subrev_u32_e32 v31, s2, v22
	v_cndmask_b32_e32 v22, v22, v31, vcc
	v_cmp_le_u32_e32 vcc, s2, v22
	v_mul_lo_u32 v22, v17, s2
	v_add_u32_e32 v31, 1, v15
	v_sub_u32_e32 v14, v14, v22
	v_cndmask_b32_e32 v15, v15, v31, vcc
	v_add_u32_e32 v22, 1, v17
	v_cmp_le_u32_e32 vcc, s2, v14
	v_cndmask_b32_e32 v17, v17, v22, vcc
	v_subrev_u32_e32 v22, s2, v14
	v_cndmask_b32_e32 v14, v14, v22, vcc
	v_xor_b32_e32 v15, v15, v4
	v_add_u32_e32 v22, 1, v17
	v_cmp_le_u32_e32 vcc, s2, v14
	v_sub_u32_e32 v15, v15, v4
	v_xor_b32_e32 v4, s3, v24
	v_cndmask_b32_e32 v14, v17, v22, vcc
	v_xor_b32_e32 v14, v14, v4
	v_sub_u32_e32 v31, v14, v4
	v_mul_lo_u32 v14, v19, s2
	v_sub_u32_e32 v14, v16, v14
	v_add_u32_e32 v16, 1, v19
	v_cmp_le_u32_e32 vcc, s2, v14
	v_subrev_u32_e32 v17, s2, v14
	v_cndmask_b32_e32 v16, v19, v16, vcc
	v_cndmask_b32_e32 v14, v14, v17, vcc
	v_add_u32_e32 v17, 1, v16
	v_cmp_le_u32_e32 vcc, s2, v14
	v_xor_b32_e32 v4, s3, v27
	v_cndmask_b32_e32 v14, v16, v17, vcc
	v_xor_b32_e32 v14, v14, v4
	v_sub_u32_e32 v27, v14, v4
	v_mul_lo_u32 v14, v9, s2
	v_sub_u32_e32 v14, v18, v14
	v_add_u32_e32 v16, 1, v9
	v_cmp_le_u32_e32 vcc, s2, v14
	v_cndmask_b32_e32 v9, v9, v16, vcc
	v_subrev_u32_e32 v16, s2, v14
	v_cndmask_b32_e32 v14, v14, v16, vcc
	v_add_u32_e32 v16, 1, v9
	v_cmp_le_u32_e32 vcc, s2, v14
	v_xor_b32_e32 v4, s3, v32
	v_cndmask_b32_e32 v9, v9, v16, vcc
	v_xor_b32_e32 v9, v9, v4
	v_sub_u32_e32 v32, v9, v4
	v_mul_lo_u32 v9, v7, s2
	v_sub_u32_e32 v8, v8, v9
	v_add_u32_e32 v9, 1, v7
	v_cmp_le_u32_e32 vcc, s2, v8
	v_cndmask_b32_e32 v7, v7, v9, vcc
	v_subrev_u32_e32 v9, s2, v8
	v_cndmask_b32_e32 v8, v8, v9, vcc
	.loc	1 0 0                           ; int8_utils_aot.py:0
	v_ashrrev_i32_e32 v35, 31, v35
	.loc	1 86 26                         ; int8_utils_aot.py:86:26
	v_add_u32_e32 v9, 1, v7
	v_cmp_le_u32_e32 vcc, s2, v8
	v_xor_b32_e32 v4, s3, v35
	v_cndmask_b32_e32 v7, v7, v9, vcc
	v_xor_b32_e32 v7, v7, v4
	v_sub_u32_e32 v35, v7, v4
	v_mul_lo_u32 v7, v5, s2
	v_sub_u32_e32 v6, v6, v7
	v_add_u32_e32 v7, 1, v5
	v_cmp_le_u32_e32 vcc, s2, v6
	v_cndmask_b32_e32 v5, v5, v7, vcc
	v_subrev_u32_e32 v7, s2, v6
	v_cndmask_b32_e32 v6, v6, v7, vcc
	v_add_u32_e32 v7, 1, v5
	v_cmp_le_u32_e32 vcc, s2, v6
	v_xor_b32_e32 v4, s3, v26
	v_cndmask_b32_e32 v5, v5, v7, vcc
	v_xor_b32_e32 v5, v5, v4
	v_sub_u32_e32 v26, v5, v4
	v_mul_lo_u32 v5, v21, s2
	v_sub_u32_e32 v5, v36, v5
	v_add_u32_e32 v6, 1, v21
	v_cmp_le_u32_e32 vcc, s2, v5
	v_subrev_u32_e32 v7, s2, v5
	v_cndmask_b32_e32 v6, v21, v6, vcc
	v_cndmask_b32_e32 v5, v5, v7, vcc
	.loc	1 0 0                           ; int8_utils_aot.py:0
	v_ashrrev_i32_e32 v37, 31, v37
	.loc	1 86 26                         ; int8_utils_aot.py:86:26
	v_add_u32_e32 v7, 1, v6
	v_cmp_le_u32_e32 vcc, s2, v5
	v_xor_b32_e32 v4, s3, v37
	v_cndmask_b32_e32 v5, v6, v7, vcc
	v_xor_b32_e32 v5, v5, v4
	v_sub_u32_e32 v36, v5, v4
	v_mul_lo_u32 v5, v23, s2
	v_sub_u32_e32 v5, v20, v5
	v_add_u32_e32 v6, 1, v23
	v_cmp_le_u32_e32 vcc, s2, v5
	v_subrev_u32_e32 v7, s2, v5
	v_cndmask_b32_e32 v6, v23, v6, vcc
	v_cndmask_b32_e32 v5, v5, v7, vcc
	v_add_u32_e32 v7, 1, v6
	v_cmp_le_u32_e32 vcc, s2, v5
	v_xor_b32_e32 v4, s3, v29
	v_cndmask_b32_e32 v5, v6, v7, vcc
	v_xor_b32_e32 v5, v5, v4
	v_sub_u32_e32 v29, v5, v4
	.loc	1 87 30 is_stmt 1               ; int8_utils_aot.py:87:30
	v_mul_lo_u32 v4, v25, s47
	.loc	1 87 19 is_stmt 0               ; int8_utils_aot.py:87:19
	v_ashrrev_i32_e32 v5, 31, v4
	.loc	1 87 30                         ; int8_utils_aot.py:87:30
	v_mul_lo_u32 v6, v28, s47
	.loc	1 87 19                         ; int8_utils_aot.py:87:19
	v_lshlrev_b64 v[4:5], 2, v[4:5]
	.loc	1 87 30                         ; int8_utils_aot.py:87:30
	v_mul_lo_u32 v22, v3, s47
	.loc	1 87 19                         ; int8_utils_aot.py:87:19
	v_mov_b32_e32 v3, s15
	v_add_co_u32_e32 v4, vcc, s14, v4
	v_ashrrev_i32_e32 v7, 31, v6
	.loc	1 87 30                         ; int8_utils_aot.py:87:30
	v_mul_lo_u32 v8, v33, s47
	v_accvgpr_write_b32 a54, v4
	.loc	1 87 19                         ; int8_utils_aot.py:87:19
	v_addc_co_u32_e32 v3, vcc, v3, v5, vcc
	v_lshlrev_b64 v[4:5], 2, v[6:7]
	v_accvgpr_write_b32 a55, v3
	v_mov_b32_e32 v3, s15
	v_add_co_u32_e32 v4, vcc, s14, v4
	v_ashrrev_i32_e32 v9, 31, v8
	.loc	1 87 30                         ; int8_utils_aot.py:87:30
	v_mul_lo_u32 v14, v39, s47
	v_accvgpr_write_b32 a56, v4
	.loc	1 87 19                         ; int8_utils_aot.py:87:19
	v_addc_co_u32_e32 v3, vcc, v3, v5, vcc
	v_lshlrev_b64 v[4:5], 2, v[8:9]
	.loc	1 87 30                         ; int8_utils_aot.py:87:30
	v_mul_lo_u32 v24, v15, s47
	v_accvgpr_write_b32 a57, v3
	.loc	1 87 19                         ; int8_utils_aot.py:87:19
	v_mov_b32_e32 v3, s15
	v_add_co_u32_e32 v4, vcc, s14, v4
	v_ashrrev_i32_e32 v15, 31, v14
	.loc	1 87 30                         ; int8_utils_aot.py:87:30
	v_mul_lo_u32 v16, v34, s47
	v_accvgpr_write_b32 a58, v4
	.loc	1 87 19                         ; int8_utils_aot.py:87:19
	v_addc_co_u32_e32 v3, vcc, v3, v5, vcc
	v_lshlrev_b64 v[4:5], 2, v[14:15]
	v_accvgpr_write_b32 a59, v3
	v_mov_b32_e32 v3, s15
	v_add_co_u32_e32 v4, vcc, s14, v4
	v_ashrrev_i32_e32 v17, 31, v16
	.loc	1 87 30                         ; int8_utils_aot.py:87:30
	v_mul_lo_u32 v18, v40, s47
	v_accvgpr_write_b32 a60, v4
	.loc	1 87 19                         ; int8_utils_aot.py:87:19
	v_addc_co_u32_e32 v3, vcc, v3, v5, vcc
	v_lshlrev_b64 v[4:5], 2, v[16:17]
	v_accvgpr_write_b32 a61, v3
	v_mov_b32_e32 v3, s15
	v_add_co_u32_e32 v4, vcc, s14, v4
	v_ashrrev_i32_e32 v19, 31, v18
	.loc	1 87 30                         ; int8_utils_aot.py:87:30
	v_mul_lo_u32 v20, v30, s47
	v_accvgpr_write_b32 a62, v4
	.loc	1 87 19                         ; int8_utils_aot.py:87:19
	v_addc_co_u32_e32 v3, vcc, v3, v5, vcc
	v_lshlrev_b64 v[4:5], 2, v[18:19]
	v_accvgpr_write_b32 a63, v3
	v_mov_b32_e32 v3, s15
	v_add_co_u32_e32 v4, vcc, s14, v4
	v_ashrrev_i32_e32 v21, 31, v20
	v_accvgpr_write_b32 a64, v4
	v_addc_co_u32_e32 v3, vcc, v3, v5, vcc
	v_lshlrev_b64 v[4:5], 2, v[20:21]
	v_accvgpr_write_b32 a65, v3
	v_mov_b32_e32 v3, s15
	v_add_co_u32_e32 v4, vcc, s14, v4
	v_ashrrev_i32_e32 v23, 31, v22
	v_accvgpr_write_b32 a66, v4
	v_addc_co_u32_e32 v3, vcc, v3, v5, vcc
	v_lshlrev_b64 v[4:5], 2, v[22:23]
	v_accvgpr_write_b32 a67, v3
	v_mov_b32_e32 v3, s15
	v_add_co_u32_e32 v4, vcc, s14, v4
	v_ashrrev_i32_e32 v25, 31, v24
	v_accvgpr_write_b32 a68, v4
	v_addc_co_u32_e32 v3, vcc, v3, v5, vcc
	v_lshlrev_b64 v[4:5], 2, v[24:25]
	v_add_co_u32_e32 v4, vcc, s14, v4
	v_accvgpr_write_b32 a69, v3
	v_mov_b32_e32 v3, s15
	v_accvgpr_write_b32 a70, v4
	.loc	1 87 30                         ; int8_utils_aot.py:87:30
	v_mul_lo_u32 v4, v31, s47
	.loc	1 87 19                         ; int8_utils_aot.py:87:19
	v_addc_co_u32_e32 v3, vcc, v3, v5, vcc
	v_ashrrev_i32_e32 v5, 31, v4
	v_lshlrev_b64 v[4:5], 2, v[4:5]
	v_add_co_u32_e32 v4, vcc, s14, v4
	v_accvgpr_write_b32 a71, v3
	v_mov_b32_e32 v3, s15
	v_accvgpr_write_b32 a72, v4
	.loc	1 87 30                         ; int8_utils_aot.py:87:30
	v_mul_lo_u32 v4, v27, s47
	.loc	1 87 19                         ; int8_utils_aot.py:87:19
	v_addc_co_u32_e32 v3, vcc, v3, v5, vcc
	v_ashrrev_i32_e32 v5, 31, v4
	;; [unrolled: 10-line block ×7, first 2 shown]
	v_lshlrev_b64 v[4:5], 2, v[4:5]
	v_accvgpr_write_b32 a83, v3
	v_mov_b32_e32 v3, s15
	v_add_co_u32_e32 v4, vcc, s14, v4
	.loc	1 79 51 is_stmt 1               ; int8_utils_aot.py:79:51
	v_lshrrev_b32_e32 v87, 7, v0
	.loc	1 87 19                         ; int8_utils_aot.py:87:19
	v_addc_co_u32_e32 v3, vcc, v3, v5, vcc
	.loc	1 79 51                         ; int8_utils_aot.py:79:51
	v_or_b32_e32 v39, 62, v87
	v_accvgpr_write_b32 a85, v3
	.loc	1 79 68 is_stmt 0               ; int8_utils_aot.py:79:68
	s_ashr_i32 s0, s58, 31
	.loc	1 79 38                         ; int8_utils_aot.py:79:38
	v_or_b32_e32 v3, s58, v39
	.loc	1 79 68                         ; int8_utils_aot.py:79:68
	v_add_u32_e32 v3, s0, v3
	v_xor_b32_e32 v3, s0, v3
	v_accvgpr_write_b32 a84, v4
	v_mul_hi_u32 v4, v3, v13
	v_mul_lo_u32 v4, v4, s60
	v_sub_u32_e32 v3, v3, v4
	v_subrev_u32_e32 v4, s60, v3
	v_cmp_le_u32_e32 vcc, s60, v3
	v_cndmask_b32_e32 v3, v3, v4, vcc
	v_subrev_u32_e32 v4, s60, v3
	v_cmp_le_u32_e32 vcc, s60, v3
	.loc	1 79 51                         ; int8_utils_aot.py:79:51
	v_or_b32_e32 v40, 60, v87
	.loc	1 79 68                         ; int8_utils_aot.py:79:68
	v_cndmask_b32_e32 v3, v3, v4, vcc
	.loc	1 79 38                         ; int8_utils_aot.py:79:38
	v_or_b32_e32 v4, s58, v40
	.loc	1 79 68                         ; int8_utils_aot.py:79:68
	v_add_u32_e32 v4, s0, v4
	v_xor_b32_e32 v4, s0, v4
	v_mul_hi_u32 v5, v4, v13
	v_mul_lo_u32 v5, v5, s60
	v_sub_u32_e32 v4, v4, v5
	v_subrev_u32_e32 v5, s60, v4
	v_cmp_le_u32_e32 vcc, s60, v4
	v_cndmask_b32_e32 v4, v4, v5, vcc
	v_subrev_u32_e32 v5, s60, v4
	v_cmp_le_u32_e32 vcc, s60, v4
	.loc	1 79 51                         ; int8_utils_aot.py:79:51
	v_or_b32_e32 v41, 58, v87
	.loc	1 79 68                         ; int8_utils_aot.py:79:68
	v_cndmask_b32_e32 v4, v4, v5, vcc
	.loc	1 79 38                         ; int8_utils_aot.py:79:38
	v_or_b32_e32 v5, s58, v41
	.loc	1 79 68                         ; int8_utils_aot.py:79:68
	v_add_u32_e32 v5, s0, v5
	v_xor_b32_e32 v5, s0, v5
	;; [unrolled: 17-line block ×11, first 2 shown]
	v_mul_hi_u32 v19, v18, v13
	v_mul_lo_u32 v19, v19, s60
	v_sub_u32_e32 v18, v18, v19
	v_subrev_u32_e32 v19, s60, v18
	v_cmp_le_u32_e32 vcc, s60, v18
	v_cndmask_b32_e32 v18, v18, v19, vcc
	v_accvgpr_write_b32 a49, v51
	v_subrev_u32_e32 v19, s60, v18
	v_cmp_le_u32_e32 vcc, s60, v18
	.loc	1 79 51                         ; int8_utils_aot.py:79:51
	v_or_b32_e32 v51, 38, v87
	.loc	1 79 68                         ; int8_utils_aot.py:79:68
	v_cndmask_b32_e32 v18, v18, v19, vcc
	.loc	1 79 38                         ; int8_utils_aot.py:79:38
	v_or_b32_e32 v19, s58, v51
	.loc	1 79 68                         ; int8_utils_aot.py:79:68
	v_add_u32_e32 v19, s0, v19
	v_xor_b32_e32 v19, s0, v19
	v_mul_hi_u32 v20, v19, v13
	v_mul_lo_u32 v20, v20, s60
	v_sub_u32_e32 v19, v19, v20
	v_subrev_u32_e32 v20, s60, v19
	v_cmp_le_u32_e32 vcc, s60, v19
	v_cndmask_b32_e32 v19, v19, v20, vcc
	v_subrev_u32_e32 v20, s60, v19
	v_cmp_le_u32_e32 vcc, s60, v19
	.loc	1 79 51                         ; int8_utils_aot.py:79:51
	v_or_b32_e32 v52, 36, v87
	.loc	1 79 68                         ; int8_utils_aot.py:79:68
	v_cndmask_b32_e32 v19, v19, v20, vcc
	.loc	1 79 38                         ; int8_utils_aot.py:79:38
	v_or_b32_e32 v20, s58, v52
	.loc	1 79 68                         ; int8_utils_aot.py:79:68
	v_add_u32_e32 v20, s0, v20
	v_xor_b32_e32 v20, s0, v20
	v_mul_hi_u32 v21, v20, v13
	v_mul_lo_u32 v21, v21, s60
	v_sub_u32_e32 v20, v20, v21
	v_subrev_u32_e32 v21, s60, v20
	v_cmp_le_u32_e32 vcc, s60, v20
	v_cndmask_b32_e32 v20, v20, v21, vcc
	;; [unrolled: 17-line block ×19, first 2 shown]
	v_subrev_u32_e32 v38, s60, v37
	v_cmp_le_u32_e32 vcc, s60, v37
	v_cndmask_b32_e32 v37, v37, v38, vcc
	.loc	1 79 38                         ; int8_utils_aot.py:79:38
	v_or_b32_e32 v38, s58, v87
	.loc	1 79 68                         ; int8_utils_aot.py:79:68
	v_add_u32_e32 v38, s0, v38
	v_xor_b32_e32 v38, s0, v38
	v_mul_hi_u32 v13, v38, v13
	v_mul_lo_u32 v13, v13, s60
	v_sub_u32_e32 v13, v38, v13
	v_subrev_u32_e32 v38, s60, v13
	v_cmp_le_u32_e32 vcc, s60, v13
	v_cndmask_b32_e32 v13, v13, v38, vcc
	v_subrev_u32_e32 v38, s60, v13
	v_cmp_le_u32_e32 vcc, s60, v13
	v_xor_b32_e32 v4, s0, v4
	v_cndmask_b32_e32 v13, v13, v38, vcc
	v_subrev_u32_e32 v38, s0, v4
	v_xor_b32_e32 v4, s0, v5
	v_subrev_u32_e32 v5, s0, v4
	v_xor_b32_e32 v4, s0, v6
	;; [unrolled: 2-line block ×29, first 2 shown]
	v_xor_b32_e32 v3, s0, v3
	v_subrev_u32_e32 v37, s0, v4
	v_xor_b32_e32 v4, s0, v13
	v_subrev_u32_e32 v3, s0, v3
	v_subrev_u32_e32 v13, s0, v4
	.loc	1 82 67 is_stmt 1               ; int8_utils_aot.py:82:67
	v_mul_lo_u32 v4, s51, v69
	.loc	1 82 49 is_stmt 0               ; int8_utils_aot.py:82:49
	v_mad_u64_u32 v[72:73], s[0:1], v3, s50, v[4:5]
	v_accvgpr_write_b32 a118, v72
	v_mad_u64_u32 v[72:73], s[0:1], v38, s50, v[4:5]
	v_accvgpr_write_b32 a120, v72
	v_mad_u64_u32 v[72:73], s[0:1], v5, s50, v[4:5]
	v_accvgpr_write_b32 a122, v72
	v_mad_u64_u32 v[72:73], s[0:1], v6, s50, v[4:5]
	v_mad_u64_u32 v[6:7], s[0:1], v7, s50, v[4:5]
	v_accvgpr_write_b32 a126, v6
	v_mad_u64_u32 v[6:7], s[0:1], v8, s50, v[4:5]
	v_accvgpr_write_b32 a128, v6
	v_mad_u64_u32 v[6:7], s[0:1], v9, s50, v[4:5]
	v_accvgpr_write_b32 a130, v6
	v_mad_u64_u32 v[6:7], s[0:1], v14, s50, v[4:5]
	s_abs_i32 s12, s49
	v_accvgpr_write_b32 a132, v6
	v_mad_u64_u32 v[6:7], s[0:1], v15, s50, v[4:5]
	v_cvt_f32_u32_e32 v3, s12
	v_accvgpr_write_b32 a134, v6
	v_mad_u64_u32 v[6:7], s[0:1], v16, s50, v[4:5]
	v_accvgpr_write_b32 a136, v6
	v_mad_u64_u32 v[6:7], s[0:1], v17, s50, v[4:5]
	;; [unrolled: 2-line block ×4, first 2 shown]
	v_rcp_iflag_f32_e32 v3, v3
	v_accvgpr_write_b32 a142, v6
	v_mad_u64_u32 v[6:7], s[0:1], v20, s50, v[4:5]
	v_accvgpr_write_b32 a144, v6
	v_mad_u64_u32 v[6:7], s[0:1], v21, s50, v[4:5]
	;; [unrolled: 2-line block ×4, first 2 shown]
	v_mul_f32_e32 v3, 0x4f7ffffe, v3
	v_accvgpr_write_b32 a150, v6
	v_mad_u64_u32 v[6:7], s[0:1], v24, s50, v[4:5]
	v_cvt_u32_f32_e32 v3, v3
	v_accvgpr_write_b32 a152, v6
	v_mad_u64_u32 v[104:105], s[0:1], v25, s50, v[4:5]
	v_mad_u64_u32 v[6:7], s[0:1], v26, s50, v[4:5]
	;; [unrolled: 1-line block ×14, first 2 shown]
	v_lshlrev_b32_e32 v4, 4, v12
	v_add_u32_e32 v5, 0, v11
.Ltmp12:
	.loc	2 43 30 is_stmt 1               ; standard.py:43:30 @[ int8_utils_aot.py:90:33 ]
	s_ashr_i32 s1, s59, 31
	v_add3_u32 v105, v5, v4, v1
	v_lshlrev_b32_e32 v4, 2, v0
	s_lshr_b32 s1, s1, 25
	v_and_b32_e32 v4, 60, v4
	v_readfirstlane_b32 s0, v3
.Ltmp13:
	.loc	1 80 68                         ; int8_utils_aot.py:80:68
	v_xor_b32_e32 v2, s57, v2
.Ltmp14:
	.loc	2 43 30                         ; standard.py:43:30 @[ int8_utils_aot.py:90:33 ]
	s_add_i32 s59, s59, s1
.Ltmp15:
	.loc	1 79 51                         ; int8_utils_aot.py:79:51
	v_bfe_i32 v3, v0, 7, 1
	s_sub_i32 s1, 0, s12
	v_lshl_or_b32 v1, v1, 7, v4
	.loc	1 80 68                         ; int8_utils_aot.py:80:68
	v_subrev_u32_e32 v2, s57, v2
	v_and_b32_e32 v3, 0x84, v3
	s_mul_i32 s1, s1, s0
	v_accvgpr_write_b32 a154, v6
	v_xor_b32_e32 v1, v1, v10
	v_xor_b32_e32 v3, v3, v69
	s_mul_hi_u32 s1, s0, s1
	.loc	1 83 25                         ; int8_utils_aot.py:83:25
	v_or_b32_e32 v4, 64, v87
	v_or_b32_e32 v5, 0x42, v87
	;; [unrolled: 1-line block ×32, first 2 shown]
	.loc	1 83 67 is_stmt 0               ; int8_utils_aot.py:83:67
	v_mul_lo_u32 v2, v2, s55
	s_add_i32 s19, s0, s1
	.loc	1 83 48                         ; int8_utils_aot.py:83:48
	v_mad_u64_u32 v[132:133], s[0:1], s54, v87, v[2:3]
	.loc	1 90 22 is_stmt 1               ; int8_utils_aot.py:90:22
	v_mad_u64_u32 v[134:135], s[0:1], s54, v117, v[2:3]
	v_mad_u64_u32 v[136:137], s[0:1], s54, v115, v[2:3]
	;; [unrolled: 1-line block ×27, first 2 shown]
	v_accvgpr_write_b32 a125, v8
	v_mad_u64_u32 v[188:189], s[0:1], s54, v8, v[2:3]
	v_accvgpr_write_b32 a123, v7
	v_mad_u64_u32 v[190:191], s[0:1], s54, v7, v[2:3]
	;; [unrolled: 2-line block ×5, first 2 shown]
	v_mad_u64_u32 v[198:199], s[0:1], s54, v39, v[2:3]
	v_mad_u64_u32 v[200:201], s[0:1], s54, v40, v[2:3]
	;; [unrolled: 1-line block ×31, first 2 shown]
	v_xor_b32_e32 v2, 8, v3
	v_xor_b32_e32 v4, 16, v3
	;; [unrolled: 1-line block ×6, first 2 shown]
	v_accvgpr_write_b32 a127, v9
	v_xor_b32_e32 v9, 56, v3
	v_add_u32_e32 v33, 0, v3
	v_add_u32_e32 v35, 0, v2
	;; [unrolled: 1-line block ×7, first 2 shown]
	v_xor_b32_e32 v2, 8, v1
	v_xor_b32_e32 v3, 16, v1
	;; [unrolled: 1-line block ×7, first 2 shown]
	.loc	1 101 33                        ; int8_utils_aot.py:101:33
	s_lshl_b32 s14, s54, 7
	.loc	1 100 33                        ; int8_utils_aot.py:100:33
	s_lshl_b32 s15, s51, 7
	v_accvgpr_write_b32 a141, v16
	v_accvgpr_write_b32 a139, v15
	;; [unrolled: 1-line block ×7, first 2 shown]
	v_add_u32_e32 v143, 0, v9
	v_add_u32_e32 v145, 0, v1
	;; [unrolled: 1-line block ×9, first 2 shown]
	v_or_b32_e32 v1, 0x300, v0
	v_or_b32_e32 v2, 0x700, v0
	;; [unrolled: 1-line block ×16, first 2 shown]
	v_mov_b32_e32 v36, 0
	v_accvgpr_write_b32 a124, v72
.Ltmp16:
	.loc	2 43 30                         ; standard.py:43:30 @[ int8_utils_aot.py:90:33 ]
	s_ashr_i32 s13, s59, 7
	s_ashr_i32 s16, s15, 31
	;; [unrolled: 1-line block ×4, first 2 shown]
	v_accvgpr_write_b32 a155, v23
	v_accvgpr_write_b32 a153, v22
	;; [unrolled: 1-line block ×38, first 2 shown]
	v_add_u32_e32 v161, 0, v0
	v_add_u32_e32 v163, 0, v1
	;; [unrolled: 1-line block ×17, first 2 shown]
	s_mov_b32 s20, 0xc0c0004
	v_mov_b32_e32 v37, v36
	v_mov_b32_e32 v38, v36
	;; [unrolled: 1-line block ×31, first 2 shown]
	s_branch .LBB0_3
.Ltmp17:
.LBB0_2:                                ;   in Loop: Header=BB0_3 Depth=1
	.loc	2 0 30 is_stmt 0                ; standard.py:0:30
	s_or_b64 exec, exec, s[0:1]
	.loc	1 95 29 is_stmt 1               ; int8_utils_aot.py:95:29
	s_abs_i32 s1, s56
	s_mul_hi_u32 s2, s1, s19
	s_mul_i32 s3, s2, s12
	s_ashr_i32 s0, s56, 31
	s_sub_i32 s1, s1, s3
	s_xor_b32 s0, s0, s18
	s_add_i32 s3, s2, 1
	s_sub_i32 s21, s1, s12
	s_cmp_ge_u32 s1, s12
	s_cselect_b32 s2, s3, s2
	s_cselect_b32 s1, s21, s1
	s_add_i32 s3, s2, 1
	s_cmp_ge_u32 s1, s12
	s_cselect_b32 s1, s3, s2
	s_xor_b32 s1, s1, s0
	s_sub_i32 s2, s1, s0
	.loc	1 96 42                         ; int8_utils_aot.py:96:42
	s_mul_i32 s0, s2, s45
	.loc	1 96 32 is_stmt 0               ; int8_utils_aot.py:96:32
	s_ashr_i32 s1, s0, 31
	s_lshl_b64 s[0:1], s[0:1], 2
	v_accvgpr_read_b32 v68, a50
	v_add_co_u32_e32 v70, vcc, s0, v68
	v_mov_b32_e32 v68, s1
	v_accvgpr_read_b32 v71, a51
	v_addc_co_u32_e32 v71, vcc, v71, v68, vcc
	v_accvgpr_read_b32 v72, a52
	v_add_co_u32_e32 v72, vcc, s0, v72
	.loc	1 97 42 is_stmt 1               ; int8_utils_aot.py:97:42
	s_mul_i32 s0, s2, s46
	v_accvgpr_read_b32 v73, a53
	.loc	1 97 32 is_stmt 0               ; int8_utils_aot.py:97:32
	s_ashr_i32 s1, s0, 31
	.loc	1 96 32 is_stmt 1               ; int8_utils_aot.py:96:32
	v_addc_co_u32_e32 v73, vcc, v73, v68, vcc
	.loc	1 96 22 is_stmt 0               ; int8_utils_aot.py:96:22
	global_load_dword v86, v[70:71], off
	global_load_dword v68, v[72:73], off
	.loc	1 97 32 is_stmt 1               ; int8_utils_aot.py:97:32
	s_lshl_b64 s[0:1], s[0:1], 2
	v_accvgpr_read_b32 v70, a54
	v_add_co_u32_e32 v70, vcc, s0, v70
	v_mov_b32_e32 v89, s1
	v_accvgpr_read_b32 v71, a55
	v_addc_co_u32_e32 v71, vcc, v71, v89, vcc
	v_accvgpr_read_b32 v72, a56
	v_add_co_u32_e32 v72, vcc, s0, v72
	v_accvgpr_read_b32 v73, a57
	v_addc_co_u32_e32 v73, vcc, v73, v89, vcc
	v_accvgpr_read_b32 v74, a58
	v_add_co_u32_e32 v74, vcc, s0, v74
	;; [unrolled: 4-line block ×15, first 2 shown]
	v_accvgpr_read_b32 v107, a85
	v_addc_co_u32_e32 v107, vcc, v107, v89, vcc
	.loc	1 97 22 is_stmt 0               ; int8_utils_aot.py:97:22
	global_load_dword v70, v[70:71], off
	s_nop 0
	global_load_dword v71, v[72:73], off
	s_nop 0
	global_load_dword v72, v[74:75], off
	global_load_dword v73, v[76:77], off
	s_nop 0
	global_load_dword v74, v[78:79], off
	global_load_dword v75, v[80:81], off
	;; [unrolled: 1-line block ×4, first 2 shown]
	s_nop 0
	global_load_dword v78, v[90:91], off
	global_load_dword v79, v[92:93], off
	;; [unrolled: 1-line block ×8, first 2 shown]
	.loc	1 91 20 is_stmt 1               ; int8_utils_aot.py:91:20
	s_waitcnt lgkmcnt(0)
	s_barrier
	s_waitcnt vmcnt(18)
	ds_write_b8 v33, v0
	ds_write_b8 v33, v8 offset:2048
	ds_write_b8 v33, v16 offset:4096
	;; [unrolled: 1-line block ×31, first 2 shown]
	v_add_u32_e32 v2, 0x1000, v145
	v_add_u32_e32 v4, 0x1000, v147
	;; [unrolled: 1-line block ×8, first 2 shown]
	s_waitcnt lgkmcnt(0)
	s_barrier
	ds_read2_b32 v[0:1], v145 offset1:16
	ds_read2_b32 v[102:103], v2 offset1:16
	ds_read2_b32 v[2:3], v147 offset1:16
	ds_read2_b32 v[100:101], v4 offset1:16
	ds_read2_b32 v[4:5], v149 offset1:16
	ds_read2_b32 v[98:99], v6 offset1:16
	ds_read2_b32 v[6:7], v151 offset1:16
	ds_read2_b32 v[88:89], v8 offset1:16
	ds_read2_b32 v[8:9], v153 offset1:16
	ds_read2_b32 v[90:91], v10 offset1:16
	ds_read2_b32 v[10:11], v155 offset1:16
	ds_read2_b32 v[92:93], v12 offset1:16
	ds_read2_b32 v[12:13], v157 offset1:16
	ds_read2_b32 v[94:95], v14 offset1:16
	ds_read2_b32 v[14:15], v159 offset1:16
	ds_read2_b32 v[96:97], v16 offset1:16
	.loc	1 92 20                         ; int8_utils_aot.py:92:20
	s_waitcnt lgkmcnt(0)
	s_barrier
	ds_write_b8 v161, v31
	ds_write_b8 v161, v197 offset:256
	ds_write_b8 v161, v195 offset:512
	ds_write_b8 v163, v201
	ds_write_b8 v161, v199 offset:1024
	ds_write_b8 v161, v205 offset:1280
	ds_write_b8 v161, v203 offset:1536
	ds_write_b8 v165, v209
	ds_write_b8 v161, v207 offset:2048
	;; [unrolled: 4-line block ×15, first 2 shown]
	ds_write_b8 v161, a30 offset:15616
	ds_write_b8 v161, a29 offset:15872
	ds_write_b8 v193, a31
	s_waitcnt lgkmcnt(0)
	s_barrier
	.loc	1 99 33                         ; int8_utils_aot.py:99:33
	ds_read_u8 v16, v105 offset:128
	ds_read_u8 v17, v105
	.loc	1 90 22                         ; int8_utils_aot.py:90:22
	s_add_u32 s8, s8, s14
	s_addc_u32 s9, s9, s17
	s_add_u32 s6, s6, s15
	s_addc_u32 s7, s7, s16
	.loc	1 99 33                         ; int8_utils_aot.py:99:33
	s_waitcnt lgkmcnt(0)
	v_perm_b32 v16, v17, v16, s20
	ds_read_u8 v17, v105 offset:384
	ds_read_u8 v18, v105 offset:256
	.loc	1 90 22                         ; int8_utils_aot.py:90:22
	s_add_i32 s13, s13, -1
	s_addk_i32 s56, 0x80
	s_addk_i32 s33, 0xff80
	s_cmp_lg_u32 s13, 0
	.loc	1 99 33                         ; int8_utils_aot.py:99:33
	s_waitcnt lgkmcnt(0)
	v_perm_b32 v17, v18, v17, s20
	v_lshl_or_b32 v106, v17, 16, v16
	ds_read_u8 v16, v105 offset:1152
	ds_read_u8 v17, v105 offset:1024
	s_waitcnt lgkmcnt(0)
	v_perm_b32 v16, v17, v16, s20
	ds_read_u8 v17, v105 offset:1408
	ds_read_u8 v18, v105 offset:1280
	s_waitcnt lgkmcnt(0)
	v_perm_b32 v17, v18, v17, s20
	v_lshl_or_b32 v107, v17, 16, v16
	ds_read_u8 v16, v105 offset:2176
	ds_read_u8 v17, v105 offset:2048
	s_waitcnt lgkmcnt(0)
	v_perm_b32 v16, v17, v16, s20
	ds_read_u8 v17, v105 offset:2432
	ds_read_u8 v18, v105 offset:2304
	;; [unrolled: 9-line block ×15, first 2 shown]
	s_waitcnt lgkmcnt(0)
	v_perm_b32 v17, v18, v17, s20
	v_lshl_or_b32 v221, v17, 16, v16
	v_mfma_i32_32x32x8i8 v[16:31], v106, v0, 0
	v_mfma_i32_32x32x8i8 v[16:31], v107, v2, v[16:31]
	;; [unrolled: 1-line block ×17, first 2 shown]
	.loc	1 99 39 is_stmt 0               ; int8_utils_aot.py:99:39
	s_nop 15
	s_nop 1
	v_cvt_f32_i32_e32 v17, v17
	v_cvt_f32_i32_e32 v16, v16
	;; [unrolled: 1-line block ×12, first 2 shown]
	.loc	1 99 33                         ; int8_utils_aot.py:99:33
	v_mfma_i32_32x32x8i8 v[0:15], v107, v100, v[0:15]
	.loc	1 99 39                         ; int8_utils_aot.py:99:39
	v_cvt_f32_i32_e32 v29, v29
	v_cvt_f32_i32_e32 v28, v28
	;; [unrolled: 1-line block ×4, first 2 shown]
	.loc	1 99 53                         ; int8_utils_aot.py:99:53
	s_waitcnt vmcnt(17)
	v_pk_mul_f32 v[16:17], v[86:87], v[16:17] op_sel_hi:[0,1]
	v_pk_mul_f32 v[18:19], v[86:87], v[18:19] op_sel_hi:[0,1]
	;; [unrolled: 1-line block ×8, first 2 shown]
	.loc	1 99 23                         ; int8_utils_aot.py:99:23
	s_waitcnt vmcnt(14)
	v_pk_fma_f32 v[44:45], v[70:71], v[16:17], v[44:45]
	s_waitcnt vmcnt(12)
	v_pk_fma_f32 v[66:67], v[72:73], v[18:19], v[66:67]
	;; [unrolled: 2-line block ×3, first 2 shown]
	.loc	1 99 33                         ; int8_utils_aot.py:99:33
	v_mfma_i32_32x32x8i8 v[0:15], v195, v98, v[0:15]
	.loc	1 99 23                         ; int8_utils_aot.py:99:23
	s_waitcnt vmcnt(8)
	v_pk_fma_f32 v[62:63], v[76:77], v[22:23], v[62:63]
	s_waitcnt vmcnt(6)
	v_pk_fma_f32 v[60:61], v[78:79], v[24:25], v[60:61]
	;; [unrolled: 2-line block ×5, first 2 shown]
	.loc	1 99 33                         ; int8_utils_aot.py:99:33
	v_mfma_i32_32x32x8i8 v[0:15], v197, v88, v[0:15]
	v_mfma_i32_32x32x8i8 v[0:15], v199, v90, v[0:15]
	;; [unrolled: 1-line block ×13, first 2 shown]
	.loc	1 99 39                         ; int8_utils_aot.py:99:39
	s_nop 15
	s_nop 2
	v_cvt_f32_i32_e32 v1, v1
	v_cvt_f32_i32_e32 v0, v0
	;; [unrolled: 1-line block ×16, first 2 shown]
	.loc	1 99 53                         ; int8_utils_aot.py:99:53
	v_pk_mul_f32 v[0:1], v[68:69], v[0:1] op_sel_hi:[0,1]
	v_pk_mul_f32 v[2:3], v[68:69], v[2:3] op_sel_hi:[0,1]
	;; [unrolled: 1-line block ×8, first 2 shown]
	.loc	1 99 23                         ; int8_utils_aot.py:99:23
	v_pk_fma_f32 v[52:53], v[70:71], v[0:1], v[52:53]
	v_pk_fma_f32 v[50:51], v[72:73], v[2:3], v[50:51]
	;; [unrolled: 1-line block ×8, first 2 shown]
	.loc	1 90 22 is_stmt 1               ; int8_utils_aot.py:90:22
	s_cbranch_scc0 .LBB0_196
.LBB0_3:                                ; =>This Inner Loop Header: Depth=1
	.loc	1 91 51                         ; int8_utils_aot.py:91:51
	v_cmp_gt_i32_e32 vcc, s33, v69
	v_mov_b32_e32 v0, 0
	.loc	1 91 20 is_stmt 0               ; int8_utils_aot.py:91:20
	s_and_saveexec_b64 s[2:3], vcc
	s_cbranch_execz .LBB0_5
; %bb.4:                                ;   in Loop: Header=BB0_3 Depth=1
	.loc	1 91 59                         ; int8_utils_aot.py:91:59
	v_mov_b32_e32 v2, s7
	v_add_co_u32_e64 v0, s[0:1], s6, v130
	.loc	1 82 18 is_stmt 1               ; int8_utils_aot.py:82:18
	v_ashrrev_i32_e32 v1, 31, v130
	.loc	1 91 59                         ; int8_utils_aot.py:91:59
	v_addc_co_u32_e64 v1, s[0:1], v2, v1, s[0:1]
	.loc	1 91 20 is_stmt 0               ; int8_utils_aot.py:91:20
	global_load_ubyte v0, v[0:1], off
.LBB0_5:                                ;   in Loop: Header=BB0_3 Depth=1
	.loc	1 0 20                          ; int8_utils_aot.py:0:20
	s_or_b64 exec, exec, s[2:3]
	v_mov_b32_e32 v1, 0
	v_mov_b32_e32 v2, 0
	.loc	1 91 20                         ; int8_utils_aot.py:91:20
	s_and_saveexec_b64 s[2:3], vcc
	s_cbranch_execz .LBB0_7
; %bb.6:                                ;   in Loop: Header=BB0_3 Depth=1
	.loc	1 91 59                         ; int8_utils_aot.py:91:59
	v_mov_b32_e32 v4, s7
	v_add_co_u32_e64 v2, s[0:1], s6, v128
	.loc	1 82 18 is_stmt 1               ; int8_utils_aot.py:82:18
	v_ashrrev_i32_e32 v3, 31, v128
	.loc	1 91 59                         ; int8_utils_aot.py:91:59
	v_addc_co_u32_e64 v3, s[0:1], v4, v3, s[0:1]
	.loc	1 91 20 is_stmt 0               ; int8_utils_aot.py:91:20
	global_load_ubyte v2, v[2:3], off
.LBB0_7:                                ;   in Loop: Header=BB0_3 Depth=1
	.loc	1 0 20                          ; int8_utils_aot.py:0:20
	s_or_b64 exec, exec, s[2:3]
	.loc	1 91 20                         ; int8_utils_aot.py:91:20
	s_and_saveexec_b64 s[2:3], vcc
	s_cbranch_execz .LBB0_9
; %bb.8:                                ;   in Loop: Header=BB0_3 Depth=1
	.loc	1 91 59                         ; int8_utils_aot.py:91:59
	v_mov_b32_e32 v3, s7
	v_add_co_u32_e64 v4, s[0:1], s6, v126
	.loc	1 82 18 is_stmt 1               ; int8_utils_aot.py:82:18
	v_ashrrev_i32_e32 v1, 31, v126
	.loc	1 91 59                         ; int8_utils_aot.py:91:59
	v_addc_co_u32_e64 v5, s[0:1], v3, v1, s[0:1]
	.loc	1 91 20 is_stmt 0               ; int8_utils_aot.py:91:20
	global_load_ubyte v1, v[4:5], off
.LBB0_9:                                ;   in Loop: Header=BB0_3 Depth=1
	.loc	1 0 20                          ; int8_utils_aot.py:0:20
	s_or_b64 exec, exec, s[2:3]
	v_mov_b32_e32 v3, 0
	v_mov_b32_e32 v4, 0
	.loc	1 91 20                         ; int8_utils_aot.py:91:20
	s_and_saveexec_b64 s[2:3], vcc
	s_cbranch_execz .LBB0_11
; %bb.10:                               ;   in Loop: Header=BB0_3 Depth=1
	.loc	1 91 59                         ; int8_utils_aot.py:91:59
	v_mov_b32_e32 v6, s7
	v_add_co_u32_e64 v4, s[0:1], s6, v124
	.loc	1 82 18 is_stmt 1               ; int8_utils_aot.py:82:18
	v_ashrrev_i32_e32 v5, 31, v124
	.loc	1 91 59                         ; int8_utils_aot.py:91:59
	v_addc_co_u32_e64 v5, s[0:1], v6, v5, s[0:1]
	.loc	1 91 20 is_stmt 0               ; int8_utils_aot.py:91:20
	global_load_ubyte v4, v[4:5], off
.LBB0_11:                               ;   in Loop: Header=BB0_3 Depth=1
	.loc	1 0 20                          ; int8_utils_aot.py:0:20
	s_or_b64 exec, exec, s[2:3]
	.loc	1 91 20                         ; int8_utils_aot.py:91:20
	s_and_saveexec_b64 s[2:3], vcc
	s_cbranch_execz .LBB0_13
; %bb.12:                               ;   in Loop: Header=BB0_3 Depth=1
	.loc	1 91 59                         ; int8_utils_aot.py:91:59
	v_mov_b32_e32 v5, s7
	v_add_co_u32_e64 v6, s[0:1], s6, v122
	.loc	1 82 18 is_stmt 1               ; int8_utils_aot.py:82:18
	v_ashrrev_i32_e32 v3, 31, v122
	.loc	1 91 59                         ; int8_utils_aot.py:91:59
	v_addc_co_u32_e64 v7, s[0:1], v5, v3, s[0:1]
	.loc	1 91 20 is_stmt 0               ; int8_utils_aot.py:91:20
	global_load_ubyte v3, v[6:7], off
.LBB0_13:                               ;   in Loop: Header=BB0_3 Depth=1
	.loc	1 0 20                          ; int8_utils_aot.py:0:20
	s_or_b64 exec, exec, s[2:3]
	v_mov_b32_e32 v5, 0
	v_mov_b32_e32 v6, 0
	.loc	1 91 20                         ; int8_utils_aot.py:91:20
	s_and_saveexec_b64 s[2:3], vcc
	s_cbranch_execz .LBB0_15
; %bb.14:                               ;   in Loop: Header=BB0_3 Depth=1
	.loc	1 91 59                         ; int8_utils_aot.py:91:59
	v_mov_b32_e32 v8, s7
	v_add_co_u32_e64 v6, s[0:1], s6, v120
	.loc	1 82 18 is_stmt 1               ; int8_utils_aot.py:82:18
	v_ashrrev_i32_e32 v7, 31, v120
	.loc	1 91 59                         ; int8_utils_aot.py:91:59
	v_addc_co_u32_e64 v7, s[0:1], v8, v7, s[0:1]
	.loc	1 91 20 is_stmt 0               ; int8_utils_aot.py:91:20
	global_load_ubyte v6, v[6:7], off
.LBB0_15:                               ;   in Loop: Header=BB0_3 Depth=1
	.loc	1 0 20                          ; int8_utils_aot.py:0:20
	s_or_b64 exec, exec, s[2:3]
	.loc	1 91 20                         ; int8_utils_aot.py:91:20
	s_and_saveexec_b64 s[2:3], vcc
	s_cbranch_execz .LBB0_17
; %bb.16:                               ;   in Loop: Header=BB0_3 Depth=1
	.loc	1 91 59                         ; int8_utils_aot.py:91:59
	v_mov_b32_e32 v7, s7
	v_add_co_u32_e64 v8, s[0:1], s6, v118
	.loc	1 82 18 is_stmt 1               ; int8_utils_aot.py:82:18
	v_ashrrev_i32_e32 v5, 31, v118
	.loc	1 91 59                         ; int8_utils_aot.py:91:59
	v_addc_co_u32_e64 v9, s[0:1], v7, v5, s[0:1]
	.loc	1 91 20 is_stmt 0               ; int8_utils_aot.py:91:20
	global_load_ubyte v5, v[8:9], off
.LBB0_17:                               ;   in Loop: Header=BB0_3 Depth=1
	;; [unrolled: 34-line block ×4, first 2 shown]
	.loc	1 0 20                          ; int8_utils_aot.py:0:20
	s_or_b64 exec, exec, s[2:3]
	v_mov_b32_e32 v11, 0
	v_mov_b32_e32 v12, 0
	.loc	1 91 20                         ; int8_utils_aot.py:91:20
	s_and_saveexec_b64 s[2:3], vcc
	s_cbranch_execz .LBB0_27
; %bb.26:                               ;   in Loop: Header=BB0_3 Depth=1
	.loc	1 91 59                         ; int8_utils_aot.py:91:59
	v_mov_b32_e32 v14, s7
	v_add_co_u32_e64 v12, s[0:1], s6, v108
	.loc	1 82 18 is_stmt 1               ; int8_utils_aot.py:82:18
	v_ashrrev_i32_e32 v13, 31, v108
	.loc	1 91 59                         ; int8_utils_aot.py:91:59
	v_addc_co_u32_e64 v13, s[0:1], v14, v13, s[0:1]
	.loc	1 91 20 is_stmt 0               ; int8_utils_aot.py:91:20
	global_load_ubyte v12, v[12:13], off
.LBB0_27:                               ;   in Loop: Header=BB0_3 Depth=1
	.loc	1 0 20                          ; int8_utils_aot.py:0:20
	s_or_b64 exec, exec, s[2:3]
	.loc	1 91 20                         ; int8_utils_aot.py:91:20
	s_and_saveexec_b64 s[2:3], vcc
	s_cbranch_execz .LBB0_29
; %bb.28:                               ;   in Loop: Header=BB0_3 Depth=1
	.loc	1 0 20                          ; int8_utils_aot.py:0:20
	v_accvgpr_read_b32 v16, a154
	.loc	1 91 59                         ; int8_utils_aot.py:91:59
	v_mov_b32_e32 v13, s7
	v_add_co_u32_e64 v14, s[0:1], s6, v16
	.loc	1 82 18 is_stmt 1               ; int8_utils_aot.py:82:18
	v_ashrrev_i32_e32 v11, 31, v16
	.loc	1 91 59                         ; int8_utils_aot.py:91:59
	v_addc_co_u32_e64 v15, s[0:1], v13, v11, s[0:1]
	.loc	1 91 20 is_stmt 0               ; int8_utils_aot.py:91:20
	global_load_ubyte v11, v[14:15], off
.LBB0_29:                               ;   in Loop: Header=BB0_3 Depth=1
	.loc	1 0 20                          ; int8_utils_aot.py:0:20
	s_or_b64 exec, exec, s[2:3]
	v_mov_b32_e32 v13, 0
	v_mov_b32_e32 v14, 0
	.loc	1 91 20                         ; int8_utils_aot.py:91:20
	s_and_saveexec_b64 s[2:3], vcc
	s_cbranch_execz .LBB0_31
; %bb.30:                               ;   in Loop: Header=BB0_3 Depth=1
	.loc	1 91 59                         ; int8_utils_aot.py:91:59
	v_mov_b32_e32 v16, s7
	v_add_co_u32_e64 v14, s[0:1], s6, v104
	.loc	1 82 18 is_stmt 1               ; int8_utils_aot.py:82:18
	v_ashrrev_i32_e32 v15, 31, v104
	.loc	1 91 59                         ; int8_utils_aot.py:91:59
	v_addc_co_u32_e64 v15, s[0:1], v16, v15, s[0:1]
	.loc	1 91 20 is_stmt 0               ; int8_utils_aot.py:91:20
	global_load_ubyte v14, v[14:15], off
.LBB0_31:                               ;   in Loop: Header=BB0_3 Depth=1
	.loc	1 0 20                          ; int8_utils_aot.py:0:20
	s_or_b64 exec, exec, s[2:3]
	.loc	1 91 20                         ; int8_utils_aot.py:91:20
	s_and_saveexec_b64 s[2:3], vcc
	s_cbranch_execz .LBB0_33
; %bb.32:                               ;   in Loop: Header=BB0_3 Depth=1
	.loc	1 0 20                          ; int8_utils_aot.py:0:20
	v_accvgpr_read_b32 v18, a152
	.loc	1 91 59                         ; int8_utils_aot.py:91:59
	v_mov_b32_e32 v15, s7
	v_add_co_u32_e64 v16, s[0:1], s6, v18
	.loc	1 82 18 is_stmt 1               ; int8_utils_aot.py:82:18
	v_ashrrev_i32_e32 v13, 31, v18
	.loc	1 91 59                         ; int8_utils_aot.py:91:59
	v_addc_co_u32_e64 v17, s[0:1], v15, v13, s[0:1]
	.loc	1 91 20 is_stmt 0               ; int8_utils_aot.py:91:20
	global_load_ubyte v13, v[16:17], off
.LBB0_33:                               ;   in Loop: Header=BB0_3 Depth=1
	.loc	1 0 20                          ; int8_utils_aot.py:0:20
	s_or_b64 exec, exec, s[2:3]
	v_mov_b32_e32 v16, 0
	v_mov_b32_e32 v15, 0
	.loc	1 91 20                         ; int8_utils_aot.py:91:20
	s_and_saveexec_b64 s[2:3], vcc
	s_cbranch_execz .LBB0_35
; %bb.34:                               ;   in Loop: Header=BB0_3 Depth=1
	.loc	1 0 20                          ; int8_utils_aot.py:0:20
	v_accvgpr_read_b32 v20, a150
	.loc	1 91 59                         ; int8_utils_aot.py:91:59
	v_mov_b32_e32 v17, s7
	v_add_co_u32_e64 v18, s[0:1], s6, v20
	.loc	1 82 18 is_stmt 1               ; int8_utils_aot.py:82:18
	v_ashrrev_i32_e32 v15, 31, v20
	.loc	1 91 59                         ; int8_utils_aot.py:91:59
	v_addc_co_u32_e64 v19, s[0:1], v17, v15, s[0:1]
	.loc	1 91 20 is_stmt 0               ; int8_utils_aot.py:91:20
	global_load_ubyte v15, v[18:19], off
.LBB0_35:                               ;   in Loop: Header=BB0_3 Depth=1
	.loc	1 0 20                          ; int8_utils_aot.py:0:20
	s_or_b64 exec, exec, s[2:3]
	.loc	1 91 20                         ; int8_utils_aot.py:91:20
	s_and_saveexec_b64 s[2:3], vcc
	s_cbranch_execz .LBB0_37
; %bb.36:                               ;   in Loop: Header=BB0_3 Depth=1
	.loc	1 0 20                          ; int8_utils_aot.py:0:20
	v_accvgpr_read_b32 v20, a148
	.loc	1 91 59                         ; int8_utils_aot.py:91:59
	v_mov_b32_e32 v18, s7
	v_add_co_u32_e64 v16, s[0:1], s6, v20
	.loc	1 82 18 is_stmt 1               ; int8_utils_aot.py:82:18
	v_ashrrev_i32_e32 v17, 31, v20
	.loc	1 91 59                         ; int8_utils_aot.py:91:59
	v_addc_co_u32_e64 v17, s[0:1], v18, v17, s[0:1]
	.loc	1 91 20 is_stmt 0               ; int8_utils_aot.py:91:20
	global_load_ubyte v16, v[16:17], off
.LBB0_37:                               ;   in Loop: Header=BB0_3 Depth=1
	.loc	1 0 20                          ; int8_utils_aot.py:0:20
	s_or_b64 exec, exec, s[2:3]
	v_mov_b32_e32 v17, 0
	v_mov_b32_e32 v18, 0
	.loc	1 91 20                         ; int8_utils_aot.py:91:20
	s_and_saveexec_b64 s[2:3], vcc
	s_cbranch_execz .LBB0_39
; %bb.38:                               ;   in Loop: Header=BB0_3 Depth=1
	.loc	1 0 20                          ; int8_utils_aot.py:0:20
	v_accvgpr_read_b32 v22, a146
	.loc	1 91 59                         ; int8_utils_aot.py:91:59
	v_mov_b32_e32 v20, s7
	v_add_co_u32_e64 v18, s[0:1], s6, v22
	.loc	1 82 18 is_stmt 1               ; int8_utils_aot.py:82:18
	v_ashrrev_i32_e32 v19, 31, v22
	.loc	1 91 59                         ; int8_utils_aot.py:91:59
	v_addc_co_u32_e64 v19, s[0:1], v20, v19, s[0:1]
	.loc	1 91 20 is_stmt 0               ; int8_utils_aot.py:91:20
	global_load_ubyte v18, v[18:19], off
.LBB0_39:                               ;   in Loop: Header=BB0_3 Depth=1
	.loc	1 0 20                          ; int8_utils_aot.py:0:20
	s_or_b64 exec, exec, s[2:3]
	.loc	1 91 20                         ; int8_utils_aot.py:91:20
	s_and_saveexec_b64 s[2:3], vcc
	s_cbranch_execz .LBB0_41
; %bb.40:                               ;   in Loop: Header=BB0_3 Depth=1
	.loc	1 0 20                          ; int8_utils_aot.py:0:20
	v_accvgpr_read_b32 v22, a144
	.loc	1 91 59                         ; int8_utils_aot.py:91:59
	v_mov_b32_e32 v19, s7
	v_add_co_u32_e64 v20, s[0:1], s6, v22
	.loc	1 82 18 is_stmt 1               ; int8_utils_aot.py:82:18
	v_ashrrev_i32_e32 v17, 31, v22
	.loc	1 91 59                         ; int8_utils_aot.py:91:59
	v_addc_co_u32_e64 v21, s[0:1], v19, v17, s[0:1]
	.loc	1 91 20 is_stmt 0               ; int8_utils_aot.py:91:20
	global_load_ubyte v17, v[20:21], off
.LBB0_41:                               ;   in Loop: Header=BB0_3 Depth=1
	.loc	1 0 20                          ; int8_utils_aot.py:0:20
	s_or_b64 exec, exec, s[2:3]
	v_mov_b32_e32 v19, 0
	v_mov_b32_e32 v20, 0
	.loc	1 91 20                         ; int8_utils_aot.py:91:20
	s_and_saveexec_b64 s[2:3], vcc
	s_cbranch_execz .LBB0_43
; %bb.42:                               ;   in Loop: Header=BB0_3 Depth=1
	.loc	1 0 20                          ; int8_utils_aot.py:0:20
	v_accvgpr_read_b32 v24, a142
	.loc	1 91 59                         ; int8_utils_aot.py:91:59
	v_mov_b32_e32 v22, s7
	v_add_co_u32_e64 v20, s[0:1], s6, v24
	.loc	1 82 18 is_stmt 1               ; int8_utils_aot.py:82:18
	v_ashrrev_i32_e32 v21, 31, v24
	.loc	1 91 59                         ; int8_utils_aot.py:91:59
	v_addc_co_u32_e64 v21, s[0:1], v22, v21, s[0:1]
	.loc	1 91 20 is_stmt 0               ; int8_utils_aot.py:91:20
	global_load_ubyte v20, v[20:21], off
.LBB0_43:                               ;   in Loop: Header=BB0_3 Depth=1
	.loc	1 0 20                          ; int8_utils_aot.py:0:20
	s_or_b64 exec, exec, s[2:3]
	.loc	1 91 20                         ; int8_utils_aot.py:91:20
	s_and_saveexec_b64 s[2:3], vcc
	s_cbranch_execz .LBB0_45
; %bb.44:                               ;   in Loop: Header=BB0_3 Depth=1
	.loc	1 0 20                          ; int8_utils_aot.py:0:20
	v_accvgpr_read_b32 v24, a140
	.loc	1 91 59                         ; int8_utils_aot.py:91:59
	v_mov_b32_e32 v21, s7
	v_add_co_u32_e64 v22, s[0:1], s6, v24
	.loc	1 82 18 is_stmt 1               ; int8_utils_aot.py:82:18
	v_ashrrev_i32_e32 v19, 31, v24
	.loc	1 91 59                         ; int8_utils_aot.py:91:59
	v_addc_co_u32_e64 v23, s[0:1], v21, v19, s[0:1]
	.loc	1 91 20 is_stmt 0               ; int8_utils_aot.py:91:20
	global_load_ubyte v19, v[22:23], off
.LBB0_45:                               ;   in Loop: Header=BB0_3 Depth=1
	.loc	1 0 20                          ; int8_utils_aot.py:0:20
	s_or_b64 exec, exec, s[2:3]
	v_mov_b32_e32 v21, 0
	v_mov_b32_e32 v22, 0
	.loc	1 91 20                         ; int8_utils_aot.py:91:20
	s_and_saveexec_b64 s[2:3], vcc
	s_cbranch_execz .LBB0_47
; %bb.46:                               ;   in Loop: Header=BB0_3 Depth=1
	.loc	1 0 20                          ; int8_utils_aot.py:0:20
	v_accvgpr_read_b32 v26, a138
	.loc	1 91 59                         ; int8_utils_aot.py:91:59
	v_mov_b32_e32 v24, s7
	v_add_co_u32_e64 v22, s[0:1], s6, v26
	.loc	1 82 18 is_stmt 1               ; int8_utils_aot.py:82:18
	v_ashrrev_i32_e32 v23, 31, v26
	.loc	1 91 59                         ; int8_utils_aot.py:91:59
	v_addc_co_u32_e64 v23, s[0:1], v24, v23, s[0:1]
	.loc	1 91 20 is_stmt 0               ; int8_utils_aot.py:91:20
	global_load_ubyte v22, v[22:23], off
.LBB0_47:                               ;   in Loop: Header=BB0_3 Depth=1
	.loc	1 0 20                          ; int8_utils_aot.py:0:20
	s_or_b64 exec, exec, s[2:3]
	.loc	1 91 20                         ; int8_utils_aot.py:91:20
	s_and_saveexec_b64 s[2:3], vcc
	s_cbranch_execz .LBB0_49
; %bb.48:                               ;   in Loop: Header=BB0_3 Depth=1
	.loc	1 0 20                          ; int8_utils_aot.py:0:20
	v_accvgpr_read_b32 v26, a136
	.loc	1 91 59                         ; int8_utils_aot.py:91:59
	v_mov_b32_e32 v23, s7
	v_add_co_u32_e64 v24, s[0:1], s6, v26
	.loc	1 82 18 is_stmt 1               ; int8_utils_aot.py:82:18
	v_ashrrev_i32_e32 v21, 31, v26
	.loc	1 91 59                         ; int8_utils_aot.py:91:59
	v_addc_co_u32_e64 v25, s[0:1], v23, v21, s[0:1]
	.loc	1 91 20 is_stmt 0               ; int8_utils_aot.py:91:20
	global_load_ubyte v21, v[24:25], off
.LBB0_49:                               ;   in Loop: Header=BB0_3 Depth=1
	.loc	1 0 20                          ; int8_utils_aot.py:0:20
	s_or_b64 exec, exec, s[2:3]
	v_mov_b32_e32 v24, 0
	v_mov_b32_e32 v23, 0
	.loc	1 91 20                         ; int8_utils_aot.py:91:20
	s_and_saveexec_b64 s[2:3], vcc
	s_cbranch_execz .LBB0_51
; %bb.50:                               ;   in Loop: Header=BB0_3 Depth=1
	.loc	1 0 20                          ; int8_utils_aot.py:0:20
	v_accvgpr_read_b32 v28, a134
	.loc	1 91 59                         ; int8_utils_aot.py:91:59
	v_mov_b32_e32 v25, s7
	v_add_co_u32_e64 v26, s[0:1], s6, v28
	.loc	1 82 18 is_stmt 1               ; int8_utils_aot.py:82:18
	v_ashrrev_i32_e32 v23, 31, v28
	.loc	1 91 59                         ; int8_utils_aot.py:91:59
	v_addc_co_u32_e64 v27, s[0:1], v25, v23, s[0:1]
	.loc	1 91 20 is_stmt 0               ; int8_utils_aot.py:91:20
	global_load_ubyte v23, v[26:27], off
.LBB0_51:                               ;   in Loop: Header=BB0_3 Depth=1
	.loc	1 0 20                          ; int8_utils_aot.py:0:20
	s_or_b64 exec, exec, s[2:3]
	.loc	1 91 20                         ; int8_utils_aot.py:91:20
	s_and_saveexec_b64 s[2:3], vcc
	s_cbranch_execz .LBB0_53
; %bb.52:                               ;   in Loop: Header=BB0_3 Depth=1
	.loc	1 0 20                          ; int8_utils_aot.py:0:20
	v_accvgpr_read_b32 v28, a132
	.loc	1 91 59                         ; int8_utils_aot.py:91:59
	v_mov_b32_e32 v26, s7
	v_add_co_u32_e64 v24, s[0:1], s6, v28
	.loc	1 82 18 is_stmt 1               ; int8_utils_aot.py:82:18
	v_ashrrev_i32_e32 v25, 31, v28
	.loc	1 91 59                         ; int8_utils_aot.py:91:59
	v_addc_co_u32_e64 v25, s[0:1], v26, v25, s[0:1]
	.loc	1 91 20 is_stmt 0               ; int8_utils_aot.py:91:20
	global_load_ubyte v24, v[24:25], off
.LBB0_53:                               ;   in Loop: Header=BB0_3 Depth=1
	.loc	1 0 20                          ; int8_utils_aot.py:0:20
	s_or_b64 exec, exec, s[2:3]
	v_mov_b32_e32 v25, 0
	v_mov_b32_e32 v26, 0
	.loc	1 91 20                         ; int8_utils_aot.py:91:20
	s_and_saveexec_b64 s[2:3], vcc
	s_cbranch_execz .LBB0_55
; %bb.54:                               ;   in Loop: Header=BB0_3 Depth=1
	.loc	1 0 20                          ; int8_utils_aot.py:0:20
	v_accvgpr_read_b32 v30, a130
	.loc	1 91 59                         ; int8_utils_aot.py:91:59
	v_mov_b32_e32 v28, s7
	v_add_co_u32_e64 v26, s[0:1], s6, v30
	.loc	1 82 18 is_stmt 1               ; int8_utils_aot.py:82:18
	v_ashrrev_i32_e32 v27, 31, v30
	.loc	1 91 59                         ; int8_utils_aot.py:91:59
	v_addc_co_u32_e64 v27, s[0:1], v28, v27, s[0:1]
	.loc	1 91 20 is_stmt 0               ; int8_utils_aot.py:91:20
	global_load_ubyte v26, v[26:27], off
.LBB0_55:                               ;   in Loop: Header=BB0_3 Depth=1
	.loc	1 0 20                          ; int8_utils_aot.py:0:20
	s_or_b64 exec, exec, s[2:3]
	.loc	1 91 20                         ; int8_utils_aot.py:91:20
	s_and_saveexec_b64 s[2:3], vcc
	s_cbranch_execz .LBB0_57
; %bb.56:                               ;   in Loop: Header=BB0_3 Depth=1
	.loc	1 0 20                          ; int8_utils_aot.py:0:20
	v_accvgpr_read_b32 v30, a128
	.loc	1 91 59                         ; int8_utils_aot.py:91:59
	v_mov_b32_e32 v27, s7
	v_add_co_u32_e64 v28, s[0:1], s6, v30
	.loc	1 82 18 is_stmt 1               ; int8_utils_aot.py:82:18
	v_ashrrev_i32_e32 v25, 31, v30
	.loc	1 91 59                         ; int8_utils_aot.py:91:59
	v_addc_co_u32_e64 v29, s[0:1], v27, v25, s[0:1]
	.loc	1 91 20 is_stmt 0               ; int8_utils_aot.py:91:20
	global_load_ubyte v25, v[28:29], off
.LBB0_57:                               ;   in Loop: Header=BB0_3 Depth=1
	.loc	1 0 20                          ; int8_utils_aot.py:0:20
	s_or_b64 exec, exec, s[2:3]
	v_mov_b32_e32 v27, 0
	v_mov_b32_e32 v28, 0
	.loc	1 91 20                         ; int8_utils_aot.py:91:20
	s_and_saveexec_b64 s[2:3], vcc
	s_cbranch_execz .LBB0_59
; %bb.58:                               ;   in Loop: Header=BB0_3 Depth=1
	.loc	1 0 20                          ; int8_utils_aot.py:0:20
	v_accvgpr_read_b32 v68, a126
	.loc	1 91 59                         ; int8_utils_aot.py:91:59
	v_mov_b32_e32 v30, s7
	v_add_co_u32_e64 v28, s[0:1], s6, v68
	.loc	1 82 18 is_stmt 1               ; int8_utils_aot.py:82:18
	v_ashrrev_i32_e32 v29, 31, v68
	.loc	1 91 59                         ; int8_utils_aot.py:91:59
	v_addc_co_u32_e64 v29, s[0:1], v30, v29, s[0:1]
	.loc	1 91 20 is_stmt 0               ; int8_utils_aot.py:91:20
	global_load_ubyte v28, v[28:29], off
.LBB0_59:                               ;   in Loop: Header=BB0_3 Depth=1
	.loc	1 0 20                          ; int8_utils_aot.py:0:20
	s_or_b64 exec, exec, s[2:3]
	.loc	1 91 20                         ; int8_utils_aot.py:91:20
	s_and_saveexec_b64 s[2:3], vcc
	s_cbranch_execz .LBB0_61
; %bb.60:                               ;   in Loop: Header=BB0_3 Depth=1
	.loc	1 0 20                          ; int8_utils_aot.py:0:20
	v_accvgpr_read_b32 v68, a124
	.loc	1 91 59                         ; int8_utils_aot.py:91:59
	v_mov_b32_e32 v29, s7
	v_add_co_u32_e64 v30, s[0:1], s6, v68
	.loc	1 82 18 is_stmt 1               ; int8_utils_aot.py:82:18
	v_ashrrev_i32_e32 v27, 31, v68
	.loc	1 91 59                         ; int8_utils_aot.py:91:59
	v_addc_co_u32_e64 v31, s[0:1], v29, v27, s[0:1]
	.loc	1 91 20 is_stmt 0               ; int8_utils_aot.py:91:20
	global_load_ubyte v27, v[30:31], off
.LBB0_61:                               ;   in Loop: Header=BB0_3 Depth=1
	.loc	1 0 20                          ; int8_utils_aot.py:0:20
	s_or_b64 exec, exec, s[2:3]
	v_mov_b32_e32 v29, 0
	v_mov_b32_e32 v30, 0
	.loc	1 91 20                         ; int8_utils_aot.py:91:20
	s_and_saveexec_b64 s[2:3], vcc
	s_cbranch_execz .LBB0_63
; %bb.62:                               ;   in Loop: Header=BB0_3 Depth=1
	.loc	1 0 20                          ; int8_utils_aot.py:0:20
	v_accvgpr_read_b32 v70, a122
	.loc	1 91 59                         ; int8_utils_aot.py:91:59
	v_mov_b32_e32 v68, s7
	v_add_co_u32_e64 v30, s[0:1], s6, v70
	.loc	1 82 18 is_stmt 1               ; int8_utils_aot.py:82:18
	v_ashrrev_i32_e32 v31, 31, v70
	.loc	1 91 59                         ; int8_utils_aot.py:91:59
	v_addc_co_u32_e64 v31, s[0:1], v68, v31, s[0:1]
	.loc	1 91 20 is_stmt 0               ; int8_utils_aot.py:91:20
	global_load_ubyte v30, v[30:31], off
.LBB0_63:                               ;   in Loop: Header=BB0_3 Depth=1
	.loc	1 0 20                          ; int8_utils_aot.py:0:20
	s_or_b64 exec, exec, s[2:3]
	.loc	1 91 20                         ; int8_utils_aot.py:91:20
	s_and_saveexec_b64 s[2:3], vcc
	s_cbranch_execz .LBB0_65
; %bb.64:                               ;   in Loop: Header=BB0_3 Depth=1
	.loc	1 0 20                          ; int8_utils_aot.py:0:20
	v_accvgpr_read_b32 v68, a120
	.loc	1 91 59                         ; int8_utils_aot.py:91:59
	v_mov_b32_e32 v31, s7
	v_add_co_u32_e64 v70, s[0:1], s6, v68
	.loc	1 82 18 is_stmt 1               ; int8_utils_aot.py:82:18
	v_ashrrev_i32_e32 v29, 31, v68
	.loc	1 91 59                         ; int8_utils_aot.py:91:59
	v_addc_co_u32_e64 v71, s[0:1], v31, v29, s[0:1]
	.loc	1 91 20 is_stmt 0               ; int8_utils_aot.py:91:20
	global_load_ubyte v29, v[70:71], off
.LBB0_65:                               ;   in Loop: Header=BB0_3 Depth=1
	.loc	1 0 20                          ; int8_utils_aot.py:0:20
	s_or_b64 exec, exec, s[2:3]
	v_mov_b32_e32 v31, 0
	v_mov_b32_e32 v88, 0
	.loc	1 91 20                         ; int8_utils_aot.py:91:20
	s_and_saveexec_b64 s[0:1], vcc
	s_cbranch_execz .LBB0_67
; %bb.66:                               ;   in Loop: Header=BB0_3 Depth=1
	.loc	1 0 20                          ; int8_utils_aot.py:0:20
	v_accvgpr_read_b32 v72, a118
	.loc	1 91 59                         ; int8_utils_aot.py:91:59
	v_mov_b32_e32 v68, s7
	v_add_co_u32_e32 v70, vcc, s6, v72
	.loc	1 82 18 is_stmt 1               ; int8_utils_aot.py:82:18
	v_ashrrev_i32_e32 v71, 31, v72
	.loc	1 91 59                         ; int8_utils_aot.py:91:59
	v_addc_co_u32_e32 v71, vcc, v68, v71, vcc
	.loc	1 91 20 is_stmt 0               ; int8_utils_aot.py:91:20
	global_load_ubyte v88, v[70:71], off
.LBB0_67:                               ;   in Loop: Header=BB0_3 Depth=1
	.loc	1 0 20                          ; int8_utils_aot.py:0:20
	s_or_b64 exec, exec, s[0:1]
	.loc	1 92 51 is_stmt 1               ; int8_utils_aot.py:92:51
	v_cmp_gt_i32_e32 vcc, s33, v87
	.loc	1 92 20 is_stmt 0               ; int8_utils_aot.py:92:20
	s_and_saveexec_b64 s[0:1], vcc
	s_cbranch_execz .LBB0_69
; %bb.68:                               ;   in Loop: Header=BB0_3 Depth=1
	.loc	1 91 59 is_stmt 1               ; int8_utils_aot.py:91:59
	v_mov_b32_e32 v68, s9
	v_add_co_u32_e32 v70, vcc, s8, v132
	.loc	1 83 18                         ; int8_utils_aot.py:83:18
	v_ashrrev_i32_e32 v31, 31, v132
	.loc	1 91 59                         ; int8_utils_aot.py:91:59
	v_addc_co_u32_e32 v71, vcc, v68, v31, vcc
	.loc	1 92 20                         ; int8_utils_aot.py:92:20
	global_load_ubyte v31, v[70:71], off
.LBB0_69:                               ;   in Loop: Header=BB0_3 Depth=1
	.loc	1 0 20 is_stmt 0                ; int8_utils_aot.py:0:20
	s_or_b64 exec, exec, s[0:1]
	v_accvgpr_read_b32 v68, a116
	.loc	1 92 51                         ; int8_utils_aot.py:92:51
	v_cmp_gt_i32_e32 vcc, s33, v68
	v_mov_b32_e32 v195, 0
	v_mov_b32_e32 v197, 0
	.loc	1 92 20                         ; int8_utils_aot.py:92:20
	s_and_saveexec_b64 s[0:1], vcc
	s_cbranch_execz .LBB0_71
; %bb.70:                               ;   in Loop: Header=BB0_3 Depth=1
	.loc	1 91 59 is_stmt 1               ; int8_utils_aot.py:91:59
	v_mov_b32_e32 v68, s9
	v_add_co_u32_e32 v70, vcc, s8, v34
	.loc	1 90 22                         ; int8_utils_aot.py:90:22
	v_ashrrev_i32_e32 v71, 31, v34
	.loc	1 91 59                         ; int8_utils_aot.py:91:59
	v_addc_co_u32_e32 v71, vcc, v68, v71, vcc
	.loc	1 92 20                         ; int8_utils_aot.py:92:20
	global_load_ubyte v197, v[70:71], off
.LBB0_71:                               ;   in Loop: Header=BB0_3 Depth=1
	.loc	1 0 20 is_stmt 0                ; int8_utils_aot.py:0:20
	s_or_b64 exec, exec, s[0:1]
	v_accvgpr_read_b32 v68, a115
	.loc	1 92 51                         ; int8_utils_aot.py:92:51
	v_cmp_gt_i32_e32 vcc, s33, v68
	.loc	1 92 20                         ; int8_utils_aot.py:92:20
	s_and_saveexec_b64 s[0:1], vcc
	s_cbranch_execz .LBB0_73
; %bb.72:                               ;   in Loop: Header=BB0_3 Depth=1
	.loc	1 91 59 is_stmt 1               ; int8_utils_aot.py:91:59
	v_mov_b32_e32 v68, s9
	v_add_co_u32_e32 v70, vcc, s8, v32
	.loc	1 90 22                         ; int8_utils_aot.py:90:22
	v_ashrrev_i32_e32 v71, 31, v32
	.loc	1 91 59                         ; int8_utils_aot.py:91:59
	v_addc_co_u32_e32 v71, vcc, v68, v71, vcc
	.loc	1 92 20                         ; int8_utils_aot.py:92:20
	global_load_ubyte v195, v[70:71], off
.LBB0_73:                               ;   in Loop: Header=BB0_3 Depth=1
	.loc	1 0 20 is_stmt 0                ; int8_utils_aot.py:0:20
	s_or_b64 exec, exec, s[0:1]
	v_accvgpr_read_b32 v68, a114
	.loc	1 92 51                         ; int8_utils_aot.py:92:51
	v_cmp_gt_i32_e32 vcc, s33, v68
	v_mov_b32_e32 v199, 0
	v_mov_b32_e32 v201, 0
	.loc	1 92 20                         ; int8_utils_aot.py:92:20
	s_and_saveexec_b64 s[0:1], vcc
	s_cbranch_execz .LBB0_75
; %bb.74:                               ;   in Loop: Header=BB0_3 Depth=1
	.loc	1 91 59 is_stmt 1               ; int8_utils_aot.py:91:59
	v_mov_b32_e32 v68, s9
	v_add_co_u32_e32 v70, vcc, s8, v254
	.loc	1 90 22                         ; int8_utils_aot.py:90:22
	v_ashrrev_i32_e32 v71, 31, v254
	.loc	1 91 59                         ; int8_utils_aot.py:91:59
	v_addc_co_u32_e32 v71, vcc, v68, v71, vcc
	.loc	1 92 20                         ; int8_utils_aot.py:92:20
	global_load_ubyte v201, v[70:71], off
.LBB0_75:                               ;   in Loop: Header=BB0_3 Depth=1
	.loc	1 0 20 is_stmt 0                ; int8_utils_aot.py:0:20
	s_or_b64 exec, exec, s[0:1]
	v_accvgpr_read_b32 v68, a113
	.loc	1 92 51                         ; int8_utils_aot.py:92:51
	v_cmp_gt_i32_e32 vcc, s33, v68
	.loc	1 92 20                         ; int8_utils_aot.py:92:20
	s_and_saveexec_b64 s[0:1], vcc
	s_cbranch_execz .LBB0_77
; %bb.76:                               ;   in Loop: Header=BB0_3 Depth=1
	.loc	1 91 59 is_stmt 1               ; int8_utils_aot.py:91:59
	v_mov_b32_e32 v68, s9
	v_add_co_u32_e32 v70, vcc, s8, v252
	.loc	1 90 22                         ; int8_utils_aot.py:90:22
	v_ashrrev_i32_e32 v71, 31, v252
	.loc	1 91 59                         ; int8_utils_aot.py:91:59
	v_addc_co_u32_e32 v71, vcc, v68, v71, vcc
	.loc	1 92 20                         ; int8_utils_aot.py:92:20
	global_load_ubyte v199, v[70:71], off
.LBB0_77:                               ;   in Loop: Header=BB0_3 Depth=1
	.loc	1 0 20 is_stmt 0                ; int8_utils_aot.py:0:20
	s_or_b64 exec, exec, s[0:1]
	v_accvgpr_read_b32 v68, a112
	.loc	1 92 51                         ; int8_utils_aot.py:92:51
	v_cmp_gt_i32_e32 vcc, s33, v68
	v_mov_b32_e32 v203, 0
	v_mov_b32_e32 v205, 0
	.loc	1 92 20                         ; int8_utils_aot.py:92:20
	s_and_saveexec_b64 s[0:1], vcc
	s_cbranch_execz .LBB0_79
; %bb.78:                               ;   in Loop: Header=BB0_3 Depth=1
	.loc	1 91 59 is_stmt 1               ; int8_utils_aot.py:91:59
	v_mov_b32_e32 v68, s9
	v_add_co_u32_e32 v70, vcc, s8, v250
	.loc	1 90 22                         ; int8_utils_aot.py:90:22
	v_ashrrev_i32_e32 v71, 31, v250
	.loc	1 91 59                         ; int8_utils_aot.py:91:59
	v_addc_co_u32_e32 v71, vcc, v68, v71, vcc
	.loc	1 92 20                         ; int8_utils_aot.py:92:20
	global_load_ubyte v205, v[70:71], off
.LBB0_79:                               ;   in Loop: Header=BB0_3 Depth=1
	.loc	1 0 20 is_stmt 0                ; int8_utils_aot.py:0:20
	s_or_b64 exec, exec, s[0:1]
	v_accvgpr_read_b32 v68, a111
	.loc	1 92 51                         ; int8_utils_aot.py:92:51
	v_cmp_gt_i32_e32 vcc, s33, v68
	.loc	1 92 20                         ; int8_utils_aot.py:92:20
	s_and_saveexec_b64 s[0:1], vcc
	s_cbranch_execz .LBB0_81
; %bb.80:                               ;   in Loop: Header=BB0_3 Depth=1
	.loc	1 91 59 is_stmt 1               ; int8_utils_aot.py:91:59
	v_mov_b32_e32 v68, s9
	v_add_co_u32_e32 v70, vcc, s8, v248
	.loc	1 90 22                         ; int8_utils_aot.py:90:22
	v_ashrrev_i32_e32 v71, 31, v248
	.loc	1 91 59                         ; int8_utils_aot.py:91:59
	v_addc_co_u32_e32 v71, vcc, v68, v71, vcc
	.loc	1 92 20                         ; int8_utils_aot.py:92:20
	global_load_ubyte v203, v[70:71], off
.LBB0_81:                               ;   in Loop: Header=BB0_3 Depth=1
	.loc	1 0 20 is_stmt 0                ; int8_utils_aot.py:0:20
	s_or_b64 exec, exec, s[0:1]
	v_accvgpr_read_b32 v68, a110
	.loc	1 92 51                         ; int8_utils_aot.py:92:51
	v_cmp_gt_i32_e32 vcc, s33, v68
	v_mov_b32_e32 v207, 0
	v_mov_b32_e32 v209, 0
	.loc	1 92 20                         ; int8_utils_aot.py:92:20
	s_and_saveexec_b64 s[0:1], vcc
	s_cbranch_execz .LBB0_83
; %bb.82:                               ;   in Loop: Header=BB0_3 Depth=1
	.loc	1 91 59 is_stmt 1               ; int8_utils_aot.py:91:59
	v_mov_b32_e32 v68, s9
	v_add_co_u32_e32 v70, vcc, s8, v246
	.loc	1 90 22                         ; int8_utils_aot.py:90:22
	v_ashrrev_i32_e32 v71, 31, v246
	.loc	1 91 59                         ; int8_utils_aot.py:91:59
	v_addc_co_u32_e32 v71, vcc, v68, v71, vcc
	.loc	1 92 20                         ; int8_utils_aot.py:92:20
	global_load_ubyte v209, v[70:71], off
.LBB0_83:                               ;   in Loop: Header=BB0_3 Depth=1
	.loc	1 0 20 is_stmt 0                ; int8_utils_aot.py:0:20
	s_or_b64 exec, exec, s[0:1]
	v_accvgpr_read_b32 v68, a109
	.loc	1 92 51                         ; int8_utils_aot.py:92:51
	v_cmp_gt_i32_e32 vcc, s33, v68
	.loc	1 92 20                         ; int8_utils_aot.py:92:20
	s_and_saveexec_b64 s[0:1], vcc
	s_cbranch_execz .LBB0_85
; %bb.84:                               ;   in Loop: Header=BB0_3 Depth=1
	.loc	1 91 59 is_stmt 1               ; int8_utils_aot.py:91:59
	v_mov_b32_e32 v68, s9
	v_add_co_u32_e32 v70, vcc, s8, v244
	.loc	1 90 22                         ; int8_utils_aot.py:90:22
	v_ashrrev_i32_e32 v71, 31, v244
	.loc	1 91 59                         ; int8_utils_aot.py:91:59
	v_addc_co_u32_e32 v71, vcc, v68, v71, vcc
	.loc	1 92 20                         ; int8_utils_aot.py:92:20
	global_load_ubyte v207, v[70:71], off
.LBB0_85:                               ;   in Loop: Header=BB0_3 Depth=1
	.loc	1 0 20 is_stmt 0                ; int8_utils_aot.py:0:20
	s_or_b64 exec, exec, s[0:1]
	v_accvgpr_read_b32 v68, a108
	.loc	1 92 51                         ; int8_utils_aot.py:92:51
	v_cmp_gt_i32_e32 vcc, s33, v68
	v_mov_b32_e32 v211, 0
	v_mov_b32_e32 v213, 0
	.loc	1 92 20                         ; int8_utils_aot.py:92:20
	s_and_saveexec_b64 s[0:1], vcc
	s_cbranch_execz .LBB0_87
; %bb.86:                               ;   in Loop: Header=BB0_3 Depth=1
	.loc	1 91 59 is_stmt 1               ; int8_utils_aot.py:91:59
	v_mov_b32_e32 v68, s9
	v_add_co_u32_e32 v70, vcc, s8, v242
	.loc	1 90 22                         ; int8_utils_aot.py:90:22
	v_ashrrev_i32_e32 v71, 31, v242
	.loc	1 91 59                         ; int8_utils_aot.py:91:59
	v_addc_co_u32_e32 v71, vcc, v68, v71, vcc
	.loc	1 92 20                         ; int8_utils_aot.py:92:20
	global_load_ubyte v213, v[70:71], off
.LBB0_87:                               ;   in Loop: Header=BB0_3 Depth=1
	.loc	1 0 20 is_stmt 0                ; int8_utils_aot.py:0:20
	s_or_b64 exec, exec, s[0:1]
	v_accvgpr_read_b32 v68, a107
	.loc	1 92 51                         ; int8_utils_aot.py:92:51
	v_cmp_gt_i32_e32 vcc, s33, v68
	.loc	1 92 20                         ; int8_utils_aot.py:92:20
	s_and_saveexec_b64 s[0:1], vcc
	s_cbranch_execz .LBB0_89
; %bb.88:                               ;   in Loop: Header=BB0_3 Depth=1
	.loc	1 91 59 is_stmt 1               ; int8_utils_aot.py:91:59
	v_mov_b32_e32 v68, s9
	v_add_co_u32_e32 v70, vcc, s8, v240
	.loc	1 90 22                         ; int8_utils_aot.py:90:22
	v_ashrrev_i32_e32 v71, 31, v240
	.loc	1 91 59                         ; int8_utils_aot.py:91:59
	v_addc_co_u32_e32 v71, vcc, v68, v71, vcc
	.loc	1 92 20                         ; int8_utils_aot.py:92:20
	global_load_ubyte v211, v[70:71], off
.LBB0_89:                               ;   in Loop: Header=BB0_3 Depth=1
	.loc	1 0 20 is_stmt 0                ; int8_utils_aot.py:0:20
	s_or_b64 exec, exec, s[0:1]
	v_accvgpr_read_b32 v68, a106
	.loc	1 92 51                         ; int8_utils_aot.py:92:51
	v_cmp_gt_i32_e32 vcc, s33, v68
	v_mov_b32_e32 v215, 0
	v_mov_b32_e32 v217, 0
	.loc	1 92 20                         ; int8_utils_aot.py:92:20
	s_and_saveexec_b64 s[0:1], vcc
	s_cbranch_execz .LBB0_91
; %bb.90:                               ;   in Loop: Header=BB0_3 Depth=1
	.loc	1 91 59 is_stmt 1               ; int8_utils_aot.py:91:59
	v_mov_b32_e32 v68, s9
	v_add_co_u32_e32 v70, vcc, s8, v238
	.loc	1 90 22                         ; int8_utils_aot.py:90:22
	v_ashrrev_i32_e32 v71, 31, v238
	.loc	1 91 59                         ; int8_utils_aot.py:91:59
	v_addc_co_u32_e32 v71, vcc, v68, v71, vcc
	.loc	1 92 20                         ; int8_utils_aot.py:92:20
	global_load_ubyte v217, v[70:71], off
.LBB0_91:                               ;   in Loop: Header=BB0_3 Depth=1
	.loc	1 0 20 is_stmt 0                ; int8_utils_aot.py:0:20
	s_or_b64 exec, exec, s[0:1]
	v_accvgpr_read_b32 v68, a105
	.loc	1 92 51                         ; int8_utils_aot.py:92:51
	v_cmp_gt_i32_e32 vcc, s33, v68
	.loc	1 92 20                         ; int8_utils_aot.py:92:20
	s_and_saveexec_b64 s[0:1], vcc
	s_cbranch_execz .LBB0_93
; %bb.92:                               ;   in Loop: Header=BB0_3 Depth=1
	.loc	1 91 59 is_stmt 1               ; int8_utils_aot.py:91:59
	v_mov_b32_e32 v68, s9
	v_add_co_u32_e32 v70, vcc, s8, v236
	.loc	1 90 22                         ; int8_utils_aot.py:90:22
	v_ashrrev_i32_e32 v71, 31, v236
	.loc	1 91 59                         ; int8_utils_aot.py:91:59
	v_addc_co_u32_e32 v71, vcc, v68, v71, vcc
	.loc	1 92 20                         ; int8_utils_aot.py:92:20
	global_load_ubyte v215, v[70:71], off
.LBB0_93:                               ;   in Loop: Header=BB0_3 Depth=1
	.loc	1 0 20 is_stmt 0                ; int8_utils_aot.py:0:20
	s_or_b64 exec, exec, s[0:1]
	v_accvgpr_read_b32 v68, a104
	.loc	1 92 51                         ; int8_utils_aot.py:92:51
	v_cmp_gt_i32_e32 vcc, s33, v68
	v_mov_b32_e32 v219, 0
	v_mov_b32_e32 v221, 0
	.loc	1 92 20                         ; int8_utils_aot.py:92:20
	s_and_saveexec_b64 s[0:1], vcc
	s_cbranch_execz .LBB0_95
; %bb.94:                               ;   in Loop: Header=BB0_3 Depth=1
	.loc	1 91 59 is_stmt 1               ; int8_utils_aot.py:91:59
	v_mov_b32_e32 v68, s9
	v_add_co_u32_e32 v70, vcc, s8, v234
	.loc	1 90 22                         ; int8_utils_aot.py:90:22
	v_ashrrev_i32_e32 v71, 31, v234
	.loc	1 91 59                         ; int8_utils_aot.py:91:59
	v_addc_co_u32_e32 v71, vcc, v68, v71, vcc
	.loc	1 92 20                         ; int8_utils_aot.py:92:20
	global_load_ubyte v221, v[70:71], off
.LBB0_95:                               ;   in Loop: Header=BB0_3 Depth=1
	.loc	1 0 20 is_stmt 0                ; int8_utils_aot.py:0:20
	s_or_b64 exec, exec, s[0:1]
	v_accvgpr_read_b32 v68, a103
	.loc	1 92 51                         ; int8_utils_aot.py:92:51
	v_cmp_gt_i32_e32 vcc, s33, v68
	.loc	1 92 20                         ; int8_utils_aot.py:92:20
	s_and_saveexec_b64 s[0:1], vcc
	s_cbranch_execz .LBB0_97
; %bb.96:                               ;   in Loop: Header=BB0_3 Depth=1
	.loc	1 91 59 is_stmt 1               ; int8_utils_aot.py:91:59
	v_mov_b32_e32 v68, s9
	v_add_co_u32_e32 v70, vcc, s8, v232
	.loc	1 90 22                         ; int8_utils_aot.py:90:22
	v_ashrrev_i32_e32 v71, 31, v232
	.loc	1 91 59                         ; int8_utils_aot.py:91:59
	v_addc_co_u32_e32 v71, vcc, v68, v71, vcc
	.loc	1 92 20                         ; int8_utils_aot.py:92:20
	global_load_ubyte v219, v[70:71], off
.LBB0_97:                               ;   in Loop: Header=BB0_3 Depth=1
	.loc	1 0 20 is_stmt 0                ; int8_utils_aot.py:0:20
	s_or_b64 exec, exec, s[0:1]
	v_accvgpr_read_b32 v68, a102
	.loc	1 92 51                         ; int8_utils_aot.py:92:51
	v_cmp_gt_i32_e32 vcc, s33, v68
	v_mov_b32_e32 v223, 0
	v_mov_b32_e32 v225, 0
	.loc	1 92 20                         ; int8_utils_aot.py:92:20
	s_and_saveexec_b64 s[0:1], vcc
	s_cbranch_execz .LBB0_99
; %bb.98:                               ;   in Loop: Header=BB0_3 Depth=1
	.loc	1 91 59 is_stmt 1               ; int8_utils_aot.py:91:59
	v_mov_b32_e32 v68, s9
	v_add_co_u32_e32 v70, vcc, s8, v230
	.loc	1 90 22                         ; int8_utils_aot.py:90:22
	v_ashrrev_i32_e32 v71, 31, v230
	.loc	1 91 59                         ; int8_utils_aot.py:91:59
	v_addc_co_u32_e32 v71, vcc, v68, v71, vcc
	.loc	1 92 20                         ; int8_utils_aot.py:92:20
	global_load_ubyte v225, v[70:71], off
.LBB0_99:                               ;   in Loop: Header=BB0_3 Depth=1
	.loc	1 0 20 is_stmt 0                ; int8_utils_aot.py:0:20
	s_or_b64 exec, exec, s[0:1]
	v_accvgpr_read_b32 v68, a101
	.loc	1 92 51                         ; int8_utils_aot.py:92:51
	v_cmp_gt_i32_e32 vcc, s33, v68
	.loc	1 92 20                         ; int8_utils_aot.py:92:20
	s_and_saveexec_b64 s[0:1], vcc
	s_cbranch_execz .LBB0_101
; %bb.100:                              ;   in Loop: Header=BB0_3 Depth=1
	.loc	1 91 59 is_stmt 1               ; int8_utils_aot.py:91:59
	v_mov_b32_e32 v68, s9
	v_add_co_u32_e32 v70, vcc, s8, v228
	.loc	1 90 22                         ; int8_utils_aot.py:90:22
	v_ashrrev_i32_e32 v71, 31, v228
	.loc	1 91 59                         ; int8_utils_aot.py:91:59
	v_addc_co_u32_e32 v71, vcc, v68, v71, vcc
	.loc	1 92 20                         ; int8_utils_aot.py:92:20
	global_load_ubyte v223, v[70:71], off
.LBB0_101:                              ;   in Loop: Header=BB0_3 Depth=1
	.loc	1 0 20 is_stmt 0                ; int8_utils_aot.py:0:20
	s_or_b64 exec, exec, s[0:1]
	v_accvgpr_read_b32 v68, a100
	.loc	1 92 51                         ; int8_utils_aot.py:92:51
	v_cmp_gt_i32_e32 vcc, s33, v68
	v_mov_b32_e32 v227, 0
	v_mov_b32_e32 v229, 0
	.loc	1 92 20                         ; int8_utils_aot.py:92:20
	s_and_saveexec_b64 s[0:1], vcc
	s_cbranch_execz .LBB0_103
; %bb.102:                              ;   in Loop: Header=BB0_3 Depth=1
	.loc	1 91 59 is_stmt 1               ; int8_utils_aot.py:91:59
	v_mov_b32_e32 v68, s9
	v_add_co_u32_e32 v70, vcc, s8, v226
	.loc	1 90 22                         ; int8_utils_aot.py:90:22
	v_ashrrev_i32_e32 v71, 31, v226
	.loc	1 91 59                         ; int8_utils_aot.py:91:59
	v_addc_co_u32_e32 v71, vcc, v68, v71, vcc
	.loc	1 92 20                         ; int8_utils_aot.py:92:20
	global_load_ubyte v229, v[70:71], off
.LBB0_103:                              ;   in Loop: Header=BB0_3 Depth=1
	.loc	1 0 20 is_stmt 0                ; int8_utils_aot.py:0:20
	s_or_b64 exec, exec, s[0:1]
	v_accvgpr_read_b32 v68, a99
	.loc	1 92 51                         ; int8_utils_aot.py:92:51
	v_cmp_gt_i32_e32 vcc, s33, v68
	.loc	1 92 20                         ; int8_utils_aot.py:92:20
	s_and_saveexec_b64 s[0:1], vcc
	s_cbranch_execz .LBB0_105
; %bb.104:                              ;   in Loop: Header=BB0_3 Depth=1
	.loc	1 91 59 is_stmt 1               ; int8_utils_aot.py:91:59
	v_mov_b32_e32 v68, s9
	v_add_co_u32_e32 v70, vcc, s8, v224
	.loc	1 90 22                         ; int8_utils_aot.py:90:22
	v_ashrrev_i32_e32 v71, 31, v224
	.loc	1 91 59                         ; int8_utils_aot.py:91:59
	v_addc_co_u32_e32 v71, vcc, v68, v71, vcc
	.loc	1 92 20                         ; int8_utils_aot.py:92:20
	global_load_ubyte v227, v[70:71], off
.LBB0_105:                              ;   in Loop: Header=BB0_3 Depth=1
	.loc	1 0 20 is_stmt 0                ; int8_utils_aot.py:0:20
	s_or_b64 exec, exec, s[0:1]
	v_accvgpr_read_b32 v68, a98
	.loc	1 92 51                         ; int8_utils_aot.py:92:51
	v_cmp_gt_i32_e32 vcc, s33, v68
	v_mov_b32_e32 v231, 0
	v_mov_b32_e32 v233, 0
	.loc	1 92 20                         ; int8_utils_aot.py:92:20
	s_and_saveexec_b64 s[0:1], vcc
	s_cbranch_execz .LBB0_107
; %bb.106:                              ;   in Loop: Header=BB0_3 Depth=1
	.loc	1 91 59 is_stmt 1               ; int8_utils_aot.py:91:59
	v_mov_b32_e32 v68, s9
	v_add_co_u32_e32 v70, vcc, s8, v222
	.loc	1 90 22                         ; int8_utils_aot.py:90:22
	v_ashrrev_i32_e32 v71, 31, v222
	.loc	1 91 59                         ; int8_utils_aot.py:91:59
	v_addc_co_u32_e32 v71, vcc, v68, v71, vcc
	.loc	1 92 20                         ; int8_utils_aot.py:92:20
	global_load_ubyte v233, v[70:71], off
.LBB0_107:                              ;   in Loop: Header=BB0_3 Depth=1
	.loc	1 0 20 is_stmt 0                ; int8_utils_aot.py:0:20
	s_or_b64 exec, exec, s[0:1]
	v_accvgpr_read_b32 v68, a97
	.loc	1 92 51                         ; int8_utils_aot.py:92:51
	v_cmp_gt_i32_e32 vcc, s33, v68
	.loc	1 92 20                         ; int8_utils_aot.py:92:20
	;; [unrolled: 40-line block ×7, first 2 shown]
	s_and_saveexec_b64 s[0:1], vcc
	s_cbranch_execz .LBB0_129
; %bb.128:                              ;   in Loop: Header=BB0_3 Depth=1
	.loc	1 91 59 is_stmt 1               ; int8_utils_aot.py:91:59
	v_mov_b32_e32 v68, s9
	v_add_co_u32_e32 v70, vcc, s8, v200
	.loc	1 90 22                         ; int8_utils_aot.py:90:22
	v_ashrrev_i32_e32 v71, 31, v200
	.loc	1 91 59                         ; int8_utils_aot.py:91:59
	v_addc_co_u32_e32 v71, vcc, v68, v71, vcc
	.loc	1 92 20                         ; int8_utils_aot.py:92:20
	global_load_ubyte v251, v[70:71], off
.LBB0_129:                              ;   in Loop: Header=BB0_3 Depth=1
	.loc	1 0 20 is_stmt 0                ; int8_utils_aot.py:0:20
	s_or_b64 exec, exec, s[0:1]
	v_accvgpr_read_b32 v68, a86
	.loc	1 92 51                         ; int8_utils_aot.py:92:51
	v_cmp_gt_i32_e32 vcc, s33, v68
	v_mov_b32_e32 v255, 0
	v_accvgpr_write_b32 a0, 0
	.loc	1 92 20                         ; int8_utils_aot.py:92:20
	s_and_saveexec_b64 s[0:1], vcc
	s_cbranch_execz .LBB0_131
; %bb.130:                              ;   in Loop: Header=BB0_3 Depth=1
	.loc	1 91 59 is_stmt 1               ; int8_utils_aot.py:91:59
	v_mov_b32_e32 v68, s9
	v_add_co_u32_e32 v70, vcc, s8, v198
	.loc	1 90 22                         ; int8_utils_aot.py:90:22
	v_ashrrev_i32_e32 v71, 31, v198
	.loc	1 91 59                         ; int8_utils_aot.py:91:59
	v_addc_co_u32_e32 v71, vcc, v68, v71, vcc
	.loc	1 92 20                         ; int8_utils_aot.py:92:20
	global_load_ubyte a0, v[70:71], off
.LBB0_131:                              ;   in Loop: Header=BB0_3 Depth=1
	.loc	1 0 20 is_stmt 0                ; int8_utils_aot.py:0:20
	s_or_b64 exec, exec, s[0:1]
	v_accvgpr_read_b32 v68, a117
	.loc	1 92 51                         ; int8_utils_aot.py:92:51
	v_cmp_gt_i32_e32 vcc, s33, v68
	.loc	1 92 20                         ; int8_utils_aot.py:92:20
	s_and_saveexec_b64 s[0:1], vcc
	s_cbranch_execz .LBB0_133
; %bb.132:                              ;   in Loop: Header=BB0_3 Depth=1
	.loc	1 91 59 is_stmt 1               ; int8_utils_aot.py:91:59
	v_mov_b32_e32 v68, s9
	v_add_co_u32_e32 v70, vcc, s8, v196
	.loc	1 90 22                         ; int8_utils_aot.py:90:22
	v_ashrrev_i32_e32 v71, 31, v196
	.loc	1 91 59                         ; int8_utils_aot.py:91:59
	v_addc_co_u32_e32 v71, vcc, v68, v71, vcc
	.loc	1 92 20                         ; int8_utils_aot.py:92:20
	global_load_ubyte v255, v[70:71], off
.LBB0_133:                              ;   in Loop: Header=BB0_3 Depth=1
	.loc	1 0 20 is_stmt 0                ; int8_utils_aot.py:0:20
	s_or_b64 exec, exec, s[0:1]
	v_accvgpr_read_b32 v68, a119
	.loc	1 92 51                         ; int8_utils_aot.py:92:51
	v_cmp_gt_i32_e32 vcc, s33, v68
	v_accvgpr_write_b32 a1, 0
	v_accvgpr_write_b32 a2, 0
	.loc	1 92 20                         ; int8_utils_aot.py:92:20
	s_and_saveexec_b64 s[0:1], vcc
	s_cbranch_execz .LBB0_135
; %bb.134:                              ;   in Loop: Header=BB0_3 Depth=1
	.loc	1 91 59 is_stmt 1               ; int8_utils_aot.py:91:59
	v_mov_b32_e32 v68, s9
	v_add_co_u32_e32 v70, vcc, s8, v194
	.loc	1 90 22                         ; int8_utils_aot.py:90:22
	v_ashrrev_i32_e32 v71, 31, v194
	.loc	1 91 59                         ; int8_utils_aot.py:91:59
	v_addc_co_u32_e32 v71, vcc, v68, v71, vcc
	.loc	1 92 20                         ; int8_utils_aot.py:92:20
	global_load_ubyte a2, v[70:71], off
.LBB0_135:                              ;   in Loop: Header=BB0_3 Depth=1
	.loc	1 0 20 is_stmt 0                ; int8_utils_aot.py:0:20
	s_or_b64 exec, exec, s[0:1]
	v_accvgpr_read_b32 v68, a121
	.loc	1 92 51                         ; int8_utils_aot.py:92:51
	v_cmp_gt_i32_e32 vcc, s33, v68
	.loc	1 92 20                         ; int8_utils_aot.py:92:20
	s_and_saveexec_b64 s[0:1], vcc
	s_cbranch_execz .LBB0_137
; %bb.136:                              ;   in Loop: Header=BB0_3 Depth=1
	.loc	1 91 59 is_stmt 1               ; int8_utils_aot.py:91:59
	v_mov_b32_e32 v68, s9
	v_add_co_u32_e32 v70, vcc, s8, v192
	.loc	1 90 22                         ; int8_utils_aot.py:90:22
	v_ashrrev_i32_e32 v71, 31, v192
	.loc	1 91 59                         ; int8_utils_aot.py:91:59
	v_addc_co_u32_e32 v71, vcc, v68, v71, vcc
	.loc	1 92 20                         ; int8_utils_aot.py:92:20
	global_load_ubyte a1, v[70:71], off
.LBB0_137:                              ;   in Loop: Header=BB0_3 Depth=1
	.loc	1 0 20 is_stmt 0                ; int8_utils_aot.py:0:20
	s_or_b64 exec, exec, s[0:1]
	v_accvgpr_read_b32 v68, a123
	.loc	1 92 51                         ; int8_utils_aot.py:92:51
	v_cmp_gt_i32_e32 vcc, s33, v68
	v_accvgpr_write_b32 a3, 0
	;; [unrolled: 40-line block ×10, first 2 shown]
	v_accvgpr_write_b32 a20, 0
	.loc	1 92 20                         ; int8_utils_aot.py:92:20
	s_and_saveexec_b64 s[0:1], vcc
	s_cbranch_execz .LBB0_171
; %bb.170:                              ;   in Loop: Header=BB0_3 Depth=1
	.loc	1 91 59 is_stmt 1               ; int8_utils_aot.py:91:59
	v_mov_b32_e32 v68, s9
	v_add_co_u32_e32 v70, vcc, s8, v158
	.loc	1 90 22                         ; int8_utils_aot.py:90:22
	v_ashrrev_i32_e32 v71, 31, v158
	.loc	1 91 59                         ; int8_utils_aot.py:91:59
	v_addc_co_u32_e32 v71, vcc, v68, v71, vcc
	.loc	1 92 20                         ; int8_utils_aot.py:92:20
	global_load_ubyte a20, v[70:71], off
.LBB0_171:                              ;   in Loop: Header=BB0_3 Depth=1
	.loc	1 0 20 is_stmt 0                ; int8_utils_aot.py:0:20
	s_or_b64 exec, exec, s[0:1]
	.loc	1 92 51                         ; int8_utils_aot.py:92:51
	v_cmp_gt_i32_e32 vcc, s33, v121
	.loc	1 92 20                         ; int8_utils_aot.py:92:20
	s_and_saveexec_b64 s[0:1], vcc
	s_cbranch_execz .LBB0_173
; %bb.172:                              ;   in Loop: Header=BB0_3 Depth=1
	.loc	1 91 59 is_stmt 1               ; int8_utils_aot.py:91:59
	v_mov_b32_e32 v68, s9
	v_add_co_u32_e32 v70, vcc, s8, v156
	.loc	1 90 22                         ; int8_utils_aot.py:90:22
	v_ashrrev_i32_e32 v71, 31, v156
	.loc	1 91 59                         ; int8_utils_aot.py:91:59
	v_addc_co_u32_e32 v71, vcc, v68, v71, vcc
	.loc	1 92 20                         ; int8_utils_aot.py:92:20
	global_load_ubyte a19, v[70:71], off
.LBB0_173:                              ;   in Loop: Header=BB0_3 Depth=1
	.loc	1 0 20 is_stmt 0                ; int8_utils_aot.py:0:20
	s_or_b64 exec, exec, s[0:1]
	.loc	1 92 51                         ; int8_utils_aot.py:92:51
	v_cmp_gt_i32_e32 vcc, s33, v123
	v_accvgpr_write_b32 a21, 0
	v_accvgpr_write_b32 a22, 0
	.loc	1 92 20                         ; int8_utils_aot.py:92:20
	s_and_saveexec_b64 s[0:1], vcc
	s_cbranch_execz .LBB0_175
; %bb.174:                              ;   in Loop: Header=BB0_3 Depth=1
	.loc	1 91 59 is_stmt 1               ; int8_utils_aot.py:91:59
	v_mov_b32_e32 v68, s9
	v_add_co_u32_e32 v70, vcc, s8, v154
	.loc	1 90 22                         ; int8_utils_aot.py:90:22
	v_ashrrev_i32_e32 v71, 31, v154
	.loc	1 91 59                         ; int8_utils_aot.py:91:59
	v_addc_co_u32_e32 v71, vcc, v68, v71, vcc
	.loc	1 92 20                         ; int8_utils_aot.py:92:20
	global_load_ubyte a22, v[70:71], off
.LBB0_175:                              ;   in Loop: Header=BB0_3 Depth=1
	.loc	1 0 20 is_stmt 0                ; int8_utils_aot.py:0:20
	s_or_b64 exec, exec, s[0:1]
	.loc	1 92 51                         ; int8_utils_aot.py:92:51
	v_cmp_gt_i32_e32 vcc, s33, v125
	.loc	1 92 20                         ; int8_utils_aot.py:92:20
	s_and_saveexec_b64 s[0:1], vcc
	s_cbranch_execz .LBB0_177
; %bb.176:                              ;   in Loop: Header=BB0_3 Depth=1
	.loc	1 91 59 is_stmt 1               ; int8_utils_aot.py:91:59
	v_mov_b32_e32 v68, s9
	v_add_co_u32_e32 v70, vcc, s8, v152
	.loc	1 90 22                         ; int8_utils_aot.py:90:22
	v_ashrrev_i32_e32 v71, 31, v152
	.loc	1 91 59                         ; int8_utils_aot.py:91:59
	v_addc_co_u32_e32 v71, vcc, v68, v71, vcc
	.loc	1 92 20                         ; int8_utils_aot.py:92:20
	global_load_ubyte a21, v[70:71], off
.LBB0_177:                              ;   in Loop: Header=BB0_3 Depth=1
	.loc	1 0 20 is_stmt 0                ; int8_utils_aot.py:0:20
	s_or_b64 exec, exec, s[0:1]
	.loc	1 92 51                         ; int8_utils_aot.py:92:51
	v_cmp_gt_i32_e32 vcc, s33, v127
	v_accvgpr_write_b32 a23, 0
	;; [unrolled: 38-line block ×6, first 2 shown]
	.loc	1 92 20                         ; int8_utils_aot.py:92:20
	s_and_saveexec_b64 s[0:1], vcc
	s_cbranch_execz .LBB0_2
; %bb.194:                              ;   in Loop: Header=BB0_3 Depth=1
	.loc	1 91 59 is_stmt 1               ; int8_utils_aot.py:91:59
	v_mov_b32_e32 v68, s9
	v_add_co_u32_e32 v70, vcc, s8, v134
	.loc	1 90 22                         ; int8_utils_aot.py:90:22
	v_ashrrev_i32_e32 v71, 31, v134
	.loc	1 91 59                         ; int8_utils_aot.py:91:59
	v_addc_co_u32_e32 v71, vcc, v68, v71, vcc
	.loc	1 92 20                         ; int8_utils_aot.py:92:20
	global_load_ubyte a31, v[70:71], off
	s_branch .LBB0_2
.LBB0_195:
	.loc	1 0 20 is_stmt 0                ; int8_utils_aot.py:0:20
	v_mov_b32_e32 v32, 0
	v_mov_b32_e32 v33, 0
	;; [unrolled: 1-line block ×16, first 2 shown]
	s_branch .LBB0_197
.LBB0_196:                              ; %._crit_edge.loopexit
	.loc	1 106 27 is_stmt 1              ; int8_utils_aot.py:106:27
	v_cvt_f16_f32_e32 v0, v67
	v_cvt_f16_f32_e32 v1, v66
	v_cvt_f16_f32_e32 v2, v65
	v_cvt_f16_f32_e32 v3, v64
	v_cvt_f16_f32_e32 v4, v63
	v_cvt_f16_f32_e32 v5, v62
	v_cvt_f16_f32_e32 v6, v61
	v_cvt_f16_f32_e32 v7, v60
	v_pack_b32_f16 v8, v1, v0
	v_pack_b32_f16 v12, v3, v2
	v_pack_b32_f16 v16, v5, v4
	v_pack_b32_f16 v20, v7, v6
	v_cvt_f16_f32_e32 v0, v59
	v_cvt_f16_f32_e32 v1, v58
	v_cvt_f16_f32_e32 v2, v57
	v_cvt_f16_f32_e32 v3, v56
	v_cvt_f16_f32_e32 v4, v55
	v_cvt_f16_f32_e32 v5, v54
	v_cvt_f16_f32_e32 v6, v53
	v_cvt_f16_f32_e32 v7, v52
	v_pack_b32_f16 v24, v1, v0
	v_pack_b32_f16 v28, v3, v2
	v_pack_b32_f16 v53, v5, v4
	v_pack_b32_f16 v52, v7, v6
	;; [unrolled: 12-line block ×4, first 2 shown]
	v_accvgpr_read_b32 v39, a32
	v_accvgpr_read_b32 v38, a33
	;; [unrolled: 1-line block ×18, first 2 shown]
.LBB0_197:                              ; %Flow
	.loc	1 0 27 is_stmt 0                ; int8_utils_aot.py:0:27
	s_load_dwordx2 s[36:37], s[4:5], 0x4c
	.loc	1 112 17 is_stmt 1              ; int8_utils_aot.py:112:17
	v_mov_b32_e32 v2, s11
	.loc	1 113 33                        ; int8_utils_aot.py:113:33
	v_cmp_gt_i32_e64 s[6:7], s52, v50
	.loc	1 112 29                        ; int8_utils_aot.py:112:29
	s_waitcnt lgkmcnt(0)
	v_mul_lo_u32 v0, v50, s36
	.loc	1 112 17 is_stmt 0              ; int8_utils_aot.py:112:17
	v_ashrrev_i32_e32 v1, 31, v0
	v_lshlrev_b64 v[0:1], 1, v[0:1]
	v_add_co_u32_e32 v36, vcc, s10, v0
	v_addc_co_u32_e32 v37, vcc, v2, v1, vcc
	.loc	1 112 60                        ; int8_utils_aot.py:112:60
	v_mul_lo_u32 v0, v51, s37
	.loc	1 112 48                        ; int8_utils_aot.py:112:48
	v_ashrrev_i32_e32 v1, 31, v0
	.loc	1 113 58 is_stmt 1              ; int8_utils_aot.py:113:58
	v_cmp_gt_i32_e32 vcc, s53, v51
	.loc	1 113 39 is_stmt 0              ; int8_utils_aot.py:113:39
	s_and_b64 s[0:1], s[6:7], vcc
	v_lshlrev_b64 v[0:1], 1, v[0:1]
	.loc	1 114 21 is_stmt 1              ; int8_utils_aot.py:114:21
	s_and_saveexec_b64 s[2:3], s[0:1]
	s_cbranch_execz .LBB0_199
; %bb.198:
	.loc	1 0 21 is_stmt 0                ; int8_utils_aot.py:0:21
	v_add_co_u32_e64 v2, s[0:1], v36, v0
	v_addc_co_u32_e64 v3, s[0:1], v37, v1, s[0:1]
	.loc	1 114 21                        ; int8_utils_aot.py:114:21
	global_store_short v[2:3], v4, off
.LBB0_199:
	.loc	1 0 21                          ; int8_utils_aot.py:0:21
	s_or_b64 exec, exec, s[2:3]
	.loc	1 112 60 is_stmt 1              ; int8_utils_aot.py:112:60
	v_mul_lo_u32 v2, s37, v49
	.loc	1 112 48 is_stmt 0              ; int8_utils_aot.py:112:48
	v_ashrrev_i32_e32 v3, 31, v2
	.loc	1 113 58 is_stmt 1              ; int8_utils_aot.py:113:58
	v_cmp_gt_i32_e64 s[0:1], s53, v49
	.loc	1 113 39 is_stmt 0              ; int8_utils_aot.py:113:39
	s_and_b64 s[2:3], s[0:1], s[6:7]
	v_lshlrev_b64 v[2:3], 1, v[2:3]
	.loc	1 114 21 is_stmt 1              ; int8_utils_aot.py:114:21
	s_and_saveexec_b64 s[4:5], s[2:3]
	s_cbranch_execz .LBB0_201
; %bb.200:
	.loc	1 112 48                        ; int8_utils_aot.py:112:48
	v_add_co_u32_e64 v6, s[2:3], v36, v2
	v_addc_co_u32_e64 v7, s[2:3], v37, v3, s[2:3]
	.loc	1 114 21                        ; int8_utils_aot.py:114:21
	global_store_short_d16_hi v[6:7], v4, off
.LBB0_201:
	.loc	1 0 21 is_stmt 0                ; int8_utils_aot.py:0:21
	s_or_b64 exec, exec, s[4:5]
	.loc	1 112 60 is_stmt 1              ; int8_utils_aot.py:112:60
	v_mul_lo_u32 v4, s37, v48
	.loc	1 112 48 is_stmt 0              ; int8_utils_aot.py:112:48
	v_ashrrev_i32_e32 v5, 31, v4
	.loc	1 113 58 is_stmt 1              ; int8_utils_aot.py:113:58
	v_cmp_gt_i32_e64 s[2:3], s53, v48
	.loc	1 113 39 is_stmt 0              ; int8_utils_aot.py:113:39
	s_and_b64 s[4:5], s[2:3], s[6:7]
	v_lshlrev_b64 v[4:5], 1, v[4:5]
	.loc	1 114 21 is_stmt 1              ; int8_utils_aot.py:114:21
	s_and_saveexec_b64 s[8:9], s[4:5]
	s_cbranch_execz .LBB0_203
; %bb.202:
	.loc	1 112 48                        ; int8_utils_aot.py:112:48
	v_add_co_u32_e64 v6, s[4:5], v36, v4
	v_addc_co_u32_e64 v7, s[4:5], v37, v5, s[4:5]
	.loc	1 114 21                        ; int8_utils_aot.py:114:21
	global_store_short v[6:7], v8, off
.LBB0_203:
	.loc	1 0 21 is_stmt 0                ; int8_utils_aot.py:0:21
	s_or_b64 exec, exec, s[8:9]
	.loc	1 112 60 is_stmt 1              ; int8_utils_aot.py:112:60
	v_mul_lo_u32 v6, s37, v47
	.loc	1 112 48 is_stmt 0              ; int8_utils_aot.py:112:48
	v_ashrrev_i32_e32 v7, 31, v6
	.loc	1 113 58 is_stmt 1              ; int8_utils_aot.py:113:58
	v_cmp_gt_i32_e64 s[4:5], s53, v47
	.loc	1 113 39 is_stmt 0              ; int8_utils_aot.py:113:39
	s_and_b64 s[8:9], s[4:5], s[6:7]
	v_lshlrev_b64 v[6:7], 1, v[6:7]
	.loc	1 114 21 is_stmt 1              ; int8_utils_aot.py:114:21
	s_and_saveexec_b64 s[12:13], s[8:9]
	s_cbranch_execz .LBB0_205
; %bb.204:
	.loc	1 112 48                        ; int8_utils_aot.py:112:48
	v_add_co_u32_e64 v10, s[8:9], v36, v6
	v_addc_co_u32_e64 v11, s[8:9], v37, v7, s[8:9]
	.loc	1 114 21                        ; int8_utils_aot.py:114:21
	global_store_short_d16_hi v[10:11], v8, off
.LBB0_205:
	.loc	1 0 21 is_stmt 0                ; int8_utils_aot.py:0:21
	s_or_b64 exec, exec, s[12:13]
	.loc	1 112 60 is_stmt 1              ; int8_utils_aot.py:112:60
	v_mul_lo_u32 v8, s37, v45
	.loc	1 112 48 is_stmt 0              ; int8_utils_aot.py:112:48
	v_ashrrev_i32_e32 v9, 31, v8
	.loc	1 113 58 is_stmt 1              ; int8_utils_aot.py:113:58
	v_cmp_gt_i32_e64 s[8:9], s53, v45
	.loc	1 113 39 is_stmt 0              ; int8_utils_aot.py:113:39
	s_and_b64 s[12:13], s[8:9], s[6:7]
	v_lshlrev_b64 v[8:9], 1, v[8:9]
	.loc	1 114 21 is_stmt 1              ; int8_utils_aot.py:114:21
	s_and_saveexec_b64 s[14:15], s[12:13]
	s_cbranch_execz .LBB0_207
; %bb.206:
	.loc	1 112 48                        ; int8_utils_aot.py:112:48
	v_add_co_u32_e64 v10, s[12:13], v36, v8
	v_addc_co_u32_e64 v11, s[12:13], v37, v9, s[12:13]
	.loc	1 114 21                        ; int8_utils_aot.py:114:21
	global_store_short v[10:11], v12, off
.LBB0_207:
	.loc	1 0 21 is_stmt 0                ; int8_utils_aot.py:0:21
	;; [unrolled: 42-line block ×7, first 2 shown]
	s_or_b64 exec, exec, s[38:39]
	.loc	1 112 60 is_stmt 1              ; int8_utils_aot.py:112:60
	v_mul_lo_u32 v30, s37, v38
	.loc	1 112 48 is_stmt 0              ; int8_utils_aot.py:112:48
	v_ashrrev_i32_e32 v31, 31, v30
	.loc	1 113 58 is_stmt 1              ; int8_utils_aot.py:113:58
	v_cmp_gt_i32_e64 s[34:35], s53, v38
	.loc	1 113 39 is_stmt 0              ; int8_utils_aot.py:113:39
	s_and_b64 s[6:7], s[34:35], s[6:7]
	v_lshlrev_b64 v[30:31], 1, v[30:31]
	.loc	1 114 21 is_stmt 1              ; int8_utils_aot.py:114:21
	s_and_saveexec_b64 s[38:39], s[6:7]
	s_cbranch_execz .LBB0_229
; %bb.228:
	.loc	1 112 48                        ; int8_utils_aot.py:112:48
	v_add_co_u32_e64 v36, s[6:7], v36, v30
	v_addc_co_u32_e64 v37, s[6:7], v37, v31, s[6:7]
	.loc	1 114 21                        ; int8_utils_aot.py:114:21
	global_store_short_d16_hi v[36:37], v53, off
.LBB0_229:
	.loc	1 0 21 is_stmt 0                ; int8_utils_aot.py:0:21
	s_or_b64 exec, exec, s[38:39]
	.loc	1 112 29 is_stmt 1              ; int8_utils_aot.py:112:29
	v_mul_lo_u32 v36, s36, v39
	.loc	1 112 17 is_stmt 0              ; int8_utils_aot.py:112:17
	v_ashrrev_i32_e32 v37, 31, v36
	v_lshlrev_b64 v[36:37], 1, v[36:37]
	v_mov_b32_e32 v38, s11
	v_add_co_u32_e64 v36, s[6:7], s10, v36
	v_addc_co_u32_e64 v37, s[6:7], v38, v37, s[6:7]
	.loc	1 113 33 is_stmt 1              ; int8_utils_aot.py:113:33
	v_cmp_gt_i32_e64 s[6:7], s52, v39
	.loc	1 113 39 is_stmt 0              ; int8_utils_aot.py:113:39
	s_and_b64 s[36:37], s[6:7], vcc
	.loc	1 114 21 is_stmt 1              ; int8_utils_aot.py:114:21
	s_and_saveexec_b64 s[10:11], s[36:37]
	s_cbranch_execnz .LBB0_246
; %bb.230:
	.loc	1 0 21 is_stmt 0                ; int8_utils_aot.py:0:21
	s_or_b64 exec, exec, s[10:11]
	.loc	1 113 39 is_stmt 1              ; int8_utils_aot.py:113:39
	s_and_b64 s[10:11], s[6:7], s[0:1]
	.loc	1 114 21                        ; int8_utils_aot.py:114:21
	s_and_saveexec_b64 s[0:1], s[10:11]
	s_cbranch_execnz .LBB0_247
.LBB0_231:
	.loc	1 0 21 is_stmt 0                ; int8_utils_aot.py:0:21
	s_or_b64 exec, exec, s[0:1]
	.loc	1 113 39 is_stmt 1              ; int8_utils_aot.py:113:39
	s_and_b64 s[2:3], s[6:7], s[2:3]
	.loc	1 114 21                        ; int8_utils_aot.py:114:21
	s_and_saveexec_b64 s[0:1], s[2:3]
	s_cbranch_execnz .LBB0_248
.LBB0_232:
	.loc	1 0 21 is_stmt 0                ; int8_utils_aot.py:0:21
	s_or_b64 exec, exec, s[0:1]
	.loc	1 113 39 is_stmt 1              ; int8_utils_aot.py:113:39
	s_and_b64 s[2:3], s[6:7], s[4:5]
	.loc	1 114 21                        ; int8_utils_aot.py:114:21
	s_and_saveexec_b64 s[0:1], s[2:3]
	s_cbranch_execnz .LBB0_249
.LBB0_233:
	.loc	1 0 21 is_stmt 0                ; int8_utils_aot.py:0:21
	s_or_b64 exec, exec, s[0:1]
	.loc	1 113 39 is_stmt 1              ; int8_utils_aot.py:113:39
	s_and_b64 s[2:3], s[6:7], s[8:9]
	.loc	1 114 21                        ; int8_utils_aot.py:114:21
	s_and_saveexec_b64 s[0:1], s[2:3]
	s_cbranch_execnz .LBB0_250
.LBB0_234:
	.loc	1 0 21 is_stmt 0                ; int8_utils_aot.py:0:21
	s_or_b64 exec, exec, s[0:1]
	.loc	1 113 39 is_stmt 1              ; int8_utils_aot.py:113:39
	s_and_b64 s[2:3], s[6:7], s[12:13]
	.loc	1 114 21                        ; int8_utils_aot.py:114:21
	s_and_saveexec_b64 s[0:1], s[2:3]
	s_cbranch_execnz .LBB0_251
.LBB0_235:
	.loc	1 0 21 is_stmt 0                ; int8_utils_aot.py:0:21
	s_or_b64 exec, exec, s[0:1]
	.loc	1 113 39 is_stmt 1              ; int8_utils_aot.py:113:39
	s_and_b64 s[2:3], s[6:7], s[14:15]
	.loc	1 114 21                        ; int8_utils_aot.py:114:21
	s_and_saveexec_b64 s[0:1], s[2:3]
	s_cbranch_execnz .LBB0_252
.LBB0_236:
	.loc	1 0 21 is_stmt 0                ; int8_utils_aot.py:0:21
	s_or_b64 exec, exec, s[0:1]
	.loc	1 113 39 is_stmt 1              ; int8_utils_aot.py:113:39
	s_and_b64 s[2:3], s[6:7], s[16:17]
	.loc	1 114 21                        ; int8_utils_aot.py:114:21
	s_and_saveexec_b64 s[0:1], s[2:3]
	s_cbranch_execnz .LBB0_253
.LBB0_237:
	.loc	1 0 21 is_stmt 0                ; int8_utils_aot.py:0:21
	s_or_b64 exec, exec, s[0:1]
	.loc	1 113 39 is_stmt 1              ; int8_utils_aot.py:113:39
	s_and_b64 s[2:3], s[6:7], s[18:19]
	.loc	1 114 21                        ; int8_utils_aot.py:114:21
	s_and_saveexec_b64 s[0:1], s[2:3]
	s_cbranch_execnz .LBB0_254
.LBB0_238:
	.loc	1 0 21 is_stmt 0                ; int8_utils_aot.py:0:21
	s_or_b64 exec, exec, s[0:1]
	.loc	1 113 39 is_stmt 1              ; int8_utils_aot.py:113:39
	s_and_b64 s[2:3], s[6:7], s[20:21]
	.loc	1 114 21                        ; int8_utils_aot.py:114:21
	s_and_saveexec_b64 s[0:1], s[2:3]
	s_cbranch_execnz .LBB0_255
.LBB0_239:
	.loc	1 0 21 is_stmt 0                ; int8_utils_aot.py:0:21
	s_or_b64 exec, exec, s[0:1]
	.loc	1 113 39 is_stmt 1              ; int8_utils_aot.py:113:39
	s_and_b64 s[2:3], s[6:7], s[22:23]
	.loc	1 114 21                        ; int8_utils_aot.py:114:21
	s_and_saveexec_b64 s[0:1], s[2:3]
	s_cbranch_execnz .LBB0_256
.LBB0_240:
	.loc	1 0 21 is_stmt 0                ; int8_utils_aot.py:0:21
	s_or_b64 exec, exec, s[0:1]
	.loc	1 113 39 is_stmt 1              ; int8_utils_aot.py:113:39
	s_and_b64 s[2:3], s[6:7], s[24:25]
	.loc	1 114 21                        ; int8_utils_aot.py:114:21
	s_and_saveexec_b64 s[0:1], s[2:3]
	s_cbranch_execnz .LBB0_257
.LBB0_241:
	.loc	1 0 21 is_stmt 0                ; int8_utils_aot.py:0:21
	s_or_b64 exec, exec, s[0:1]
	.loc	1 113 39 is_stmt 1              ; int8_utils_aot.py:113:39
	s_and_b64 s[2:3], s[6:7], s[26:27]
	.loc	1 114 21                        ; int8_utils_aot.py:114:21
	s_and_saveexec_b64 s[0:1], s[2:3]
	s_cbranch_execnz .LBB0_258
.LBB0_242:
	.loc	1 0 21 is_stmt 0                ; int8_utils_aot.py:0:21
	s_or_b64 exec, exec, s[0:1]
	.loc	1 113 39 is_stmt 1              ; int8_utils_aot.py:113:39
	s_and_b64 s[2:3], s[6:7], s[28:29]
	.loc	1 114 21                        ; int8_utils_aot.py:114:21
	s_and_saveexec_b64 s[0:1], s[2:3]
	s_cbranch_execnz .LBB0_259
.LBB0_243:
	.loc	1 0 21 is_stmt 0                ; int8_utils_aot.py:0:21
	s_or_b64 exec, exec, s[0:1]
	.loc	1 113 39 is_stmt 1              ; int8_utils_aot.py:113:39
	s_and_b64 s[2:3], s[6:7], s[30:31]
	.loc	1 114 21                        ; int8_utils_aot.py:114:21
	s_and_saveexec_b64 s[0:1], s[2:3]
	s_cbranch_execnz .LBB0_260
.LBB0_244:
	.loc	1 0 21 is_stmt 0                ; int8_utils_aot.py:0:21
	s_or_b64 exec, exec, s[0:1]
	.loc	1 113 39 is_stmt 1              ; int8_utils_aot.py:113:39
	s_and_b64 s[0:1], s[6:7], s[34:35]
	.loc	1 114 21                        ; int8_utils_aot.py:114:21
	s_and_saveexec_b64 s[2:3], s[0:1]
	s_cbranch_execnz .LBB0_261
.LBB0_245:
	.loc	1 114 4 is_stmt 0               ; int8_utils_aot.py:114:4
	s_endpgm
.LBB0_246:
	.loc	1 112 48 is_stmt 1              ; int8_utils_aot.py:112:48
	v_add_co_u32_e32 v0, vcc, v36, v0
	v_addc_co_u32_e32 v1, vcc, v37, v1, vcc
	.loc	1 114 21                        ; int8_utils_aot.py:114:21
	global_store_short v[0:1], v52, off
	s_or_b64 exec, exec, s[10:11]
	.loc	1 113 39                        ; int8_utils_aot.py:113:39
	s_and_b64 s[10:11], s[6:7], s[0:1]
	.loc	1 114 21                        ; int8_utils_aot.py:114:21
	s_and_saveexec_b64 s[0:1], s[10:11]
	s_cbranch_execz .LBB0_231
.LBB0_247:
	.loc	1 112 48                        ; int8_utils_aot.py:112:48
	v_add_co_u32_e32 v0, vcc, v36, v2
	v_addc_co_u32_e32 v1, vcc, v37, v3, vcc
	.loc	1 114 21                        ; int8_utils_aot.py:114:21
	global_store_short_d16_hi v[0:1], v52, off
	s_or_b64 exec, exec, s[0:1]
	.loc	1 113 39                        ; int8_utils_aot.py:113:39
	s_and_b64 s[2:3], s[6:7], s[2:3]
	.loc	1 114 21                        ; int8_utils_aot.py:114:21
	s_and_saveexec_b64 s[0:1], s[2:3]
	s_cbranch_execz .LBB0_232
.LBB0_248:
	.loc	1 112 48                        ; int8_utils_aot.py:112:48
	v_add_co_u32_e32 v0, vcc, v36, v4
	v_addc_co_u32_e32 v1, vcc, v37, v5, vcc
	.loc	1 114 21                        ; int8_utils_aot.py:114:21
	global_store_short v[0:1], v46, off
	s_or_b64 exec, exec, s[0:1]
	.loc	1 113 39                        ; int8_utils_aot.py:113:39
	s_and_b64 s[2:3], s[6:7], s[4:5]
	.loc	1 114 21                        ; int8_utils_aot.py:114:21
	s_and_saveexec_b64 s[0:1], s[2:3]
	s_cbranch_execz .LBB0_233
.LBB0_249:
	.loc	1 112 48                        ; int8_utils_aot.py:112:48
	v_add_co_u32_e32 v0, vcc, v36, v6
	v_addc_co_u32_e32 v1, vcc, v37, v7, vcc
	.loc	1 114 21                        ; int8_utils_aot.py:114:21
	global_store_short_d16_hi v[0:1], v46, off
	s_or_b64 exec, exec, s[0:1]
	.loc	1 113 39                        ; int8_utils_aot.py:113:39
	s_and_b64 s[2:3], s[6:7], s[8:9]
	.loc	1 114 21                        ; int8_utils_aot.py:114:21
	s_and_saveexec_b64 s[0:1], s[2:3]
	s_cbranch_execz .LBB0_234
.LBB0_250:
	.loc	1 112 48                        ; int8_utils_aot.py:112:48
	v_add_co_u32_e32 v0, vcc, v36, v8
	v_addc_co_u32_e32 v1, vcc, v37, v9, vcc
	.loc	1 114 21                        ; int8_utils_aot.py:114:21
	global_store_short v[0:1], v43, off
	s_or_b64 exec, exec, s[0:1]
	.loc	1 113 39                        ; int8_utils_aot.py:113:39
	s_and_b64 s[2:3], s[6:7], s[12:13]
	.loc	1 114 21                        ; int8_utils_aot.py:114:21
	s_and_saveexec_b64 s[0:1], s[2:3]
	s_cbranch_execz .LBB0_235
.LBB0_251:
	.loc	1 112 48                        ; int8_utils_aot.py:112:48
	v_add_co_u32_e32 v0, vcc, v36, v10
	v_addc_co_u32_e32 v1, vcc, v37, v11, vcc
	.loc	1 114 21                        ; int8_utils_aot.py:114:21
	global_store_short_d16_hi v[0:1], v43, off
	s_or_b64 exec, exec, s[0:1]
	.loc	1 113 39                        ; int8_utils_aot.py:113:39
	s_and_b64 s[2:3], s[6:7], s[14:15]
	.loc	1 114 21                        ; int8_utils_aot.py:114:21
	s_and_saveexec_b64 s[0:1], s[2:3]
	s_cbranch_execz .LBB0_236
.LBB0_252:
	.loc	1 112 48                        ; int8_utils_aot.py:112:48
	v_add_co_u32_e32 v0, vcc, v36, v12
	v_addc_co_u32_e32 v1, vcc, v37, v13, vcc
	.loc	1 114 21                        ; int8_utils_aot.py:114:21
	global_store_short v[0:1], v42, off
	s_or_b64 exec, exec, s[0:1]
	.loc	1 113 39                        ; int8_utils_aot.py:113:39
	s_and_b64 s[2:3], s[6:7], s[16:17]
	.loc	1 114 21                        ; int8_utils_aot.py:114:21
	s_and_saveexec_b64 s[0:1], s[2:3]
	s_cbranch_execz .LBB0_237
.LBB0_253:
	.loc	1 112 48                        ; int8_utils_aot.py:112:48
	v_add_co_u32_e32 v0, vcc, v36, v14
	v_addc_co_u32_e32 v1, vcc, v37, v15, vcc
	.loc	1 114 21                        ; int8_utils_aot.py:114:21
	global_store_short_d16_hi v[0:1], v42, off
	s_or_b64 exec, exec, s[0:1]
	.loc	1 113 39                        ; int8_utils_aot.py:113:39
	s_and_b64 s[2:3], s[6:7], s[18:19]
	.loc	1 114 21                        ; int8_utils_aot.py:114:21
	s_and_saveexec_b64 s[0:1], s[2:3]
	s_cbranch_execz .LBB0_238
.LBB0_254:
	.loc	1 112 48                        ; int8_utils_aot.py:112:48
	v_add_co_u32_e32 v0, vcc, v36, v16
	v_addc_co_u32_e32 v1, vcc, v37, v17, vcc
	.loc	1 114 21                        ; int8_utils_aot.py:114:21
	global_store_short v[0:1], v35, off
	s_or_b64 exec, exec, s[0:1]
	.loc	1 113 39                        ; int8_utils_aot.py:113:39
	s_and_b64 s[2:3], s[6:7], s[20:21]
	.loc	1 114 21                        ; int8_utils_aot.py:114:21
	s_and_saveexec_b64 s[0:1], s[2:3]
	s_cbranch_execz .LBB0_239
.LBB0_255:
	.loc	1 112 48                        ; int8_utils_aot.py:112:48
	v_add_co_u32_e32 v0, vcc, v36, v18
	v_addc_co_u32_e32 v1, vcc, v37, v19, vcc
	.loc	1 114 21                        ; int8_utils_aot.py:114:21
	global_store_short_d16_hi v[0:1], v35, off
	s_or_b64 exec, exec, s[0:1]
	.loc	1 113 39                        ; int8_utils_aot.py:113:39
	s_and_b64 s[2:3], s[6:7], s[22:23]
	.loc	1 114 21                        ; int8_utils_aot.py:114:21
	s_and_saveexec_b64 s[0:1], s[2:3]
	s_cbranch_execz .LBB0_240
.LBB0_256:
	.loc	1 112 48                        ; int8_utils_aot.py:112:48
	v_add_co_u32_e32 v0, vcc, v36, v20
	v_addc_co_u32_e32 v1, vcc, v37, v21, vcc
	.loc	1 114 21                        ; int8_utils_aot.py:114:21
	global_store_short v[0:1], v34, off
	s_or_b64 exec, exec, s[0:1]
	.loc	1 113 39                        ; int8_utils_aot.py:113:39
	s_and_b64 s[2:3], s[6:7], s[24:25]
	.loc	1 114 21                        ; int8_utils_aot.py:114:21
	s_and_saveexec_b64 s[0:1], s[2:3]
	s_cbranch_execz .LBB0_241
.LBB0_257:
	.loc	1 112 48                        ; int8_utils_aot.py:112:48
	v_add_co_u32_e32 v0, vcc, v36, v22
	v_addc_co_u32_e32 v1, vcc, v37, v23, vcc
	.loc	1 114 21                        ; int8_utils_aot.py:114:21
	global_store_short_d16_hi v[0:1], v34, off
	s_or_b64 exec, exec, s[0:1]
	.loc	1 113 39                        ; int8_utils_aot.py:113:39
	s_and_b64 s[2:3], s[6:7], s[26:27]
	.loc	1 114 21                        ; int8_utils_aot.py:114:21
	s_and_saveexec_b64 s[0:1], s[2:3]
	s_cbranch_execz .LBB0_242
.LBB0_258:
	.loc	1 112 48                        ; int8_utils_aot.py:112:48
	v_add_co_u32_e32 v0, vcc, v36, v24
	v_addc_co_u32_e32 v1, vcc, v37, v25, vcc
	.loc	1 114 21                        ; int8_utils_aot.py:114:21
	global_store_short v[0:1], v33, off
	s_or_b64 exec, exec, s[0:1]
	.loc	1 113 39                        ; int8_utils_aot.py:113:39
	s_and_b64 s[2:3], s[6:7], s[28:29]
	.loc	1 114 21                        ; int8_utils_aot.py:114:21
	s_and_saveexec_b64 s[0:1], s[2:3]
	s_cbranch_execz .LBB0_243
.LBB0_259:
	.loc	1 112 48                        ; int8_utils_aot.py:112:48
	v_add_co_u32_e32 v0, vcc, v36, v26
	v_addc_co_u32_e32 v1, vcc, v37, v27, vcc
	.loc	1 114 21                        ; int8_utils_aot.py:114:21
	global_store_short_d16_hi v[0:1], v33, off
	s_or_b64 exec, exec, s[0:1]
	.loc	1 113 39                        ; int8_utils_aot.py:113:39
	s_and_b64 s[2:3], s[6:7], s[30:31]
	.loc	1 114 21                        ; int8_utils_aot.py:114:21
	s_and_saveexec_b64 s[0:1], s[2:3]
	s_cbranch_execz .LBB0_244
.LBB0_260:
	.loc	1 112 48                        ; int8_utils_aot.py:112:48
	v_add_co_u32_e32 v0, vcc, v36, v28
	v_addc_co_u32_e32 v1, vcc, v37, v29, vcc
	.loc	1 114 21                        ; int8_utils_aot.py:114:21
	global_store_short v[0:1], v32, off
	s_or_b64 exec, exec, s[0:1]
	.loc	1 113 39                        ; int8_utils_aot.py:113:39
	s_and_b64 s[0:1], s[6:7], s[34:35]
	.loc	1 114 21                        ; int8_utils_aot.py:114:21
	s_and_saveexec_b64 s[2:3], s[0:1]
	s_cbranch_execz .LBB0_245
.LBB0_261:
	.loc	1 112 48                        ; int8_utils_aot.py:112:48
	v_add_co_u32_e32 v0, vcc, v36, v30
	v_addc_co_u32_e32 v1, vcc, v37, v31, vcc
	.loc	1 114 21                        ; int8_utils_aot.py:114:21
	global_store_short_d16_hi v[0:1], v32, off
	.loc	1 114 4 is_stmt 0               ; int8_utils_aot.py:114:4
	s_endpgm
.Ltmp18:
	.section	.rodata,"a",@progbits
	.p2align	6, 0x0
	.amdhsa_kernel _w8a8_block_int8_matmul
		.amdhsa_group_segment_fixed_size 0
		.amdhsa_private_segment_fixed_size 0
		.amdhsa_kernarg_size 120
		.amdhsa_user_sgpr_count 16
		.amdhsa_user_sgpr_private_segment_buffer 1
		.amdhsa_user_sgpr_dispatch_ptr 0
		.amdhsa_user_sgpr_queue_ptr 0
		.amdhsa_user_sgpr_kernarg_segment_ptr 1
		.amdhsa_user_sgpr_dispatch_id 0
		.amdhsa_user_sgpr_flat_scratch_init 0
		.amdhsa_user_sgpr_kernarg_preload_length 10
		.amdhsa_user_sgpr_kernarg_preload_offset 0
		.amdhsa_user_sgpr_private_segment_size 0
		.amdhsa_uses_dynamic_stack 0
		.amdhsa_system_sgpr_private_segment_wavefront_offset 0
		.amdhsa_system_sgpr_workgroup_id_x 1
		.amdhsa_system_sgpr_workgroup_id_y 0
		.amdhsa_system_sgpr_workgroup_id_z 0
		.amdhsa_system_sgpr_workgroup_info 0
		.amdhsa_system_vgpr_workitem_id 0
		.amdhsa_next_free_vgpr 412
		.amdhsa_next_free_sgpr 66
		.amdhsa_accum_offset 256
		.amdhsa_reserve_vcc 1
		.amdhsa_reserve_flat_scratch 0
		.amdhsa_reserve_xnack_mask 1
		.amdhsa_float_round_mode_32 0
		.amdhsa_float_round_mode_16_64 0
		.amdhsa_float_denorm_mode_32 3
		.amdhsa_float_denorm_mode_16_64 3
		.amdhsa_dx10_clamp 1
		.amdhsa_ieee_mode 1
		.amdhsa_fp16_overflow 0
		.amdhsa_tg_split 0
		.amdhsa_exception_fp_ieee_invalid_op 0
		.amdhsa_exception_fp_denorm_src 0
		.amdhsa_exception_fp_ieee_div_zero 0
		.amdhsa_exception_fp_ieee_overflow 0
		.amdhsa_exception_fp_ieee_underflow 0
		.amdhsa_exception_fp_ieee_inexact 0
		.amdhsa_exception_int_div_zero 0
	.end_amdhsa_kernel
	.text
.Lfunc_end0:
	.size	_w8a8_block_int8_matmul, .Lfunc_end0-_w8a8_block_int8_matmul
	.cfi_endproc
                                        ; -- End function
	.set _w8a8_block_int8_matmul.num_vgpr, 256
	.set _w8a8_block_int8_matmul.num_agpr, 156
	.set _w8a8_block_int8_matmul.numbered_sgpr, 66
	.set _w8a8_block_int8_matmul.num_named_barrier, 0
	.set _w8a8_block_int8_matmul.private_seg_size, 0
	.set _w8a8_block_int8_matmul.uses_vcc, 1
	.set _w8a8_block_int8_matmul.uses_flat_scratch, 0
	.set _w8a8_block_int8_matmul.has_dyn_sized_stack, 0
	.set _w8a8_block_int8_matmul.has_recursion, 0
	.set _w8a8_block_int8_matmul.has_indirect_call, 0
	.section	.AMDGPU.csdata,"",@progbits
; Kernel info:
; codeLenInByte = 19868
; TotalNumSgprs: 70
; NumVgprs: 256
; NumAgprs: 156
; TotalNumVgprs: 412
; ScratchSize: 0
; MemoryBound: 0
; FloatMode: 240
; IeeeMode: 1
; LDSByteSize: 0 bytes/workgroup (compile time only)
; SGPRBlocks: 8
; VGPRBlocks: 51
; NumSGPRsForWavesPerEU: 70
; NumVGPRsForWavesPerEU: 412
; AccumOffset: 256
; Occupancy: 1
; WaveLimiterHint : 0
; COMPUTE_PGM_RSRC2:SCRATCH_EN: 0
; COMPUTE_PGM_RSRC2:USER_SGPR: 16
; COMPUTE_PGM_RSRC2:TRAP_HANDLER: 0
; COMPUTE_PGM_RSRC2:TGID_X_EN: 1
; COMPUTE_PGM_RSRC2:TGID_Y_EN: 0
; COMPUTE_PGM_RSRC2:TGID_Z_EN: 0
; COMPUTE_PGM_RSRC2:TIDIG_COMP_CNT: 0
; COMPUTE_PGM_RSRC3_GFX90A:ACCUM_OFFSET: 63
; COMPUTE_PGM_RSRC3_GFX90A:TG_SPLIT: 0
	.text
	.p2alignl 6, 3212836864
	.fill 256, 4, 3212836864
	.section	.AMDGPU.gpr_maximums,"",@progbits
	.set amdgpu.max_num_vgpr, 0
	.set amdgpu.max_num_agpr, 0
	.set amdgpu.max_num_sgpr, 0
	.set amdgpu.max_num_named_barrier, 0
	.text
	.section	.debug_abbrev,"",@progbits
	.byte	1                               ; Abbreviation Code
	.byte	17                              ; DW_TAG_compile_unit
	.byte	1                               ; DW_CHILDREN_yes
	.byte	37                              ; DW_AT_producer
	.byte	14                              ; DW_FORM_strp
	.byte	19                              ; DW_AT_language
	.byte	5                               ; DW_FORM_data2
	.byte	3                               ; DW_AT_name
	.byte	14                              ; DW_FORM_strp
	.byte	16                              ; DW_AT_stmt_list
	.byte	23                              ; DW_FORM_sec_offset
	.byte	27                              ; DW_AT_comp_dir
	.byte	14                              ; DW_FORM_strp
	.byte	17                              ; DW_AT_low_pc
	.byte	1                               ; DW_FORM_addr
	.byte	18                              ; DW_AT_high_pc
	.byte	6                               ; DW_FORM_data4
	.byte	0                               ; EOM(1)
	.byte	0                               ; EOM(2)
	.byte	2                               ; Abbreviation Code
	.byte	46                              ; DW_TAG_subprogram
	.byte	0                               ; DW_CHILDREN_no
	.byte	3                               ; DW_AT_name
	.byte	14                              ; DW_FORM_strp
	.byte	32                              ; DW_AT_inline
	.byte	11                              ; DW_FORM_data1
	.byte	0                               ; EOM(1)
	.byte	0                               ; EOM(2)
	.byte	3                               ; Abbreviation Code
	.byte	46                              ; DW_TAG_subprogram
	.byte	1                               ; DW_CHILDREN_yes
	.byte	17                              ; DW_AT_low_pc
	.byte	1                               ; DW_FORM_addr
	.byte	18                              ; DW_AT_high_pc
	.byte	6                               ; DW_FORM_data4
	.byte	49                              ; DW_AT_abstract_origin
	.byte	19                              ; DW_FORM_ref4
	.byte	0                               ; EOM(1)
	.byte	0                               ; EOM(2)
	.byte	4                               ; Abbreviation Code
	.byte	29                              ; DW_TAG_inlined_subroutine
	.byte	0                               ; DW_CHILDREN_no
	.byte	49                              ; DW_AT_abstract_origin
	.byte	19                              ; DW_FORM_ref4
	.byte	17                              ; DW_AT_low_pc
	.byte	1                               ; DW_FORM_addr
	.byte	18                              ; DW_AT_high_pc
	.byte	6                               ; DW_FORM_data4
	.byte	88                              ; DW_AT_call_file
	.byte	11                              ; DW_FORM_data1
	.byte	89                              ; DW_AT_call_line
	.byte	11                              ; DW_FORM_data1
	.byte	87                              ; DW_AT_call_column
	.byte	11                              ; DW_FORM_data1
	.byte	0                               ; EOM(1)
	.byte	0                               ; EOM(2)
	.byte	5                               ; Abbreviation Code
	.byte	29                              ; DW_TAG_inlined_subroutine
	.byte	0                               ; DW_CHILDREN_no
	.byte	49                              ; DW_AT_abstract_origin
	.byte	19                              ; DW_FORM_ref4
	.byte	85                              ; DW_AT_ranges
	.byte	23                              ; DW_FORM_sec_offset
	.byte	88                              ; DW_AT_call_file
	.byte	11                              ; DW_FORM_data1
	.byte	89                              ; DW_AT_call_line
	.byte	11                              ; DW_FORM_data1
	.byte	87                              ; DW_AT_call_column
	.byte	11                              ; DW_FORM_data1
	.byte	0                               ; EOM(1)
	.byte	0                               ; EOM(2)
	;; [unrolled: 1-line block ×3, first 2 shown]
	.section	.debug_info,"",@progbits
.Lcu_begin0:
	.long	.Ldebug_info_end0-.Ldebug_info_start0 ; Length of Unit
.Ldebug_info_start0:
	.short	4                               ; DWARF version number
	.long	.debug_abbrev                   ; Offset Into Abbrev. Section
	.byte	8                               ; Address Size (in bytes)
	.byte	1                               ; Abbrev [1] 0xb:0x64 DW_TAG_compile_unit
	.long	.Linfo_string0                  ; DW_AT_producer
	.short	2                               ; DW_AT_language
	.long	.Linfo_string1                  ; DW_AT_name
	.long	.Lline_table_start0             ; DW_AT_stmt_list
	.long	.Linfo_string2                  ; DW_AT_comp_dir
	.quad	.Lfunc_begin0                   ; DW_AT_low_pc
	.long	.Lfunc_end0-.Lfunc_begin0       ; DW_AT_high_pc
	.byte	2                               ; Abbrev [2] 0x2a:0x6 DW_TAG_subprogram
	.long	.Linfo_string3                  ; DW_AT_name
	.byte	1                               ; DW_AT_inline
	.byte	3                               ; Abbrev [3] 0x30:0x3e DW_TAG_subprogram
	.quad	.Lfunc_begin0                   ; DW_AT_low_pc
	.long	.Lfunc_end0-.Lfunc_begin0       ; DW_AT_high_pc
	.long	42                              ; DW_AT_abstract_origin
	.byte	4                               ; Abbrev [4] 0x41:0x14 DW_TAG_inlined_subroutine
	.long	42                              ; DW_AT_abstract_origin
	.quad	.Ltmp2                          ; DW_AT_low_pc
	.long	.Ltmp3-.Ltmp2                   ; DW_AT_high_pc
	.byte	1                               ; DW_AT_call_file
	.byte	71                              ; DW_AT_call_line
	.byte	27                              ; DW_AT_call_column
	.byte	5                               ; Abbrev [5] 0x55:0xc DW_TAG_inlined_subroutine
	.long	42                              ; DW_AT_abstract_origin
	.long	.Ldebug_ranges0                 ; DW_AT_ranges
	.byte	1                               ; DW_AT_call_file
	.byte	70                              ; DW_AT_call_line
	.byte	27                              ; DW_AT_call_column
	.byte	5                               ; Abbrev [5] 0x61:0xc DW_TAG_inlined_subroutine
	.long	42                              ; DW_AT_abstract_origin
	.long	.Ldebug_ranges1                 ; DW_AT_ranges
	.byte	1                               ; DW_AT_call_file
	.byte	90                              ; DW_AT_call_line
	.byte	33                              ; DW_AT_call_column
	.byte	0                               ; End Of Children Mark
	.byte	0                               ; End Of Children Mark
.Ldebug_info_end0:
	.section	.debug_ranges,"",@progbits
.Ldebug_ranges0:
	.quad	.Ltmp4-.Lfunc_begin0
	.quad	.Ltmp5-.Lfunc_begin0
	;; [unrolled: 1-line block ×6, first 2 shown]
	.quad	0
	.quad	0
.Ldebug_ranges1:
	.quad	.Ltmp10-.Lfunc_begin0
	.quad	.Ltmp11-.Lfunc_begin0
	;; [unrolled: 1-line block ×8, first 2 shown]
	.quad	0
	.quad	0
	.section	.debug_str,"MS",@progbits,1
.Linfo_string0:
	.asciz	"triton"                        ; string offset=0
.Linfo_string1:
	.asciz	"int8_utils_aot.py"             ; string offset=7
.Linfo_string2:
	.asciz	"/root/src/amdgpu-assembly/repos/vllm-project__vllm/triton_aot_kernels" ; string offset=25
.Linfo_string3:
	.asciz	"_w8a8_block_int8_matmul"       ; string offset=95
	.section	".note.GNU-stack","",@progbits
	.amdgpu_metadata
---
amdhsa.kernels:
  - .agpr_count:     156
    .args:
      - .address_space:  global
        .offset:         0
        .size:           8
        .value_kind:     global_buffer
      - .address_space:  global
        .offset:         8
        .size:           8
        .value_kind:     global_buffer
      - .address_space:  global
        .offset:         16
        .size:           8
        .value_kind:     global_buffer
      - .address_space:  global
        .offset:         24
        .size:           8
        .value_kind:     global_buffer
      - .address_space:  global
        .offset:         32
        .size:           8
        .value_kind:     global_buffer
      - .offset:         40
        .size:           4
        .value_kind:     by_value
      - .offset:         44
        .size:           4
        .value_kind:     by_value
      - .offset:         48
        .size:           4
        .value_kind:     by_value
      - .offset:         52
        .size:           4
        .value_kind:     by_value
      - .offset:         56
        .size:           4
        .value_kind:     by_value
      - .offset:         60
        .size:           4
        .value_kind:     by_value
      - .offset:         64
        .size:           4
        .value_kind:     by_value
      - .offset:         68
        .size:           4
        .value_kind:     by_value
      - .offset:         72
        .size:           4
        .value_kind:     by_value
      - .offset:         76
        .size:           4
        .value_kind:     by_value
      - .offset:         80
        .size:           4
        .value_kind:     by_value
      - .offset:         84
        .size:           4
        .value_kind:     by_value
      - .offset:         88
        .size:           4
        .value_kind:     by_value
      - .offset:         92
        .size:           4
        .value_kind:     by_value
      - .offset:         96
        .size:           4
        .value_kind:     by_value
      - .address_space:  global
        .offset:         104
        .size:           8
        .value_kind:     global_buffer
      - .address_space:  global
        .offset:         112
        .size:           8
        .value_kind:     global_buffer
    .group_segment_fixed_size: 0
    .kernarg_segment_align: 8
    .kernarg_segment_size: 120
    .max_flat_workgroup_size: 256
    .name:           _w8a8_block_int8_matmul
    .private_segment_fixed_size: 0
    .sgpr_count:     70
    .sgpr_spill_count: 0
    .symbol:         _w8a8_block_int8_matmul.kd
    .uniform_work_group_size: 1
    .uses_dynamic_stack: false
    .vgpr_count:     412
    .vgpr_spill_count: 0
    .wavefront_size: 64
amdhsa.target:   amdgcn-amd-amdhsa--gfx90a
amdhsa.version:
  - 1
  - 2
...

	.end_amdgpu_metadata
	.section	.debug_line,"",@progbits
.Lline_table_start0:
